;; amdgpu-corpus repo=ROCm/aiter kind=harvested arch=n/a opt=n/a

/root/src/amdgpu-assembly/repos/ROCm__aiter/hsa/gfx942/i8gemm/I8gemm_bf16_perTokenI8_BpreShuffle_112x256.co:	file format elf64-amdgpu

Disassembly of section .text:

0000000000002000 <_ZN5aiter42I8gemm_bf16_perTokenI8_BpreShuffle_112x256E>:
	v_bfe_u32 v2, v0, 20, 10                                   // 000000002000: D1C80002 02292900
	s_and_b32 s1, s1, 0xffff                                   // 000000002008: 8601FF01 0000FFFF
	s_load_dwordx2 s[16:17], s[0:1], 0x0                       // 000000002010: C0060400 00000000
	s_load_dwordx2 s[8:9], s[0:1], 0x10                        // 000000002018: C0060200 00000010
	s_load_dwordx2 s[12:13], s[0:1], 0x20                      // 000000002020: C0060300 00000020
	s_load_dwordx2 s[20:21], s[0:1], 0x30                      // 000000002028: C0060500 00000030
	s_load_dwordx2 s[24:25], s[0:1], 0x40                      // 000000002030: C0060600 00000040
	s_load_dwordx2 s[28:29], s[0:1], 0x50                      // 000000002038: C0060700 00000050
	s_load_dword s32, s[0:1], 0x60                             // 000000002040: C0020800 00000060
	s_load_dword s33, s[0:1], 0x70                             // 000000002048: C0020840 00000070
	s_load_dword s34, s[0:1], 0x80                             // 000000002050: C0020880 00000080
	s_load_dword s35, s[0:1], 0x90                             // 000000002058: C00208C0 00000090
	s_load_dword s36, s[0:1], 0xa0                             // 000000002060: C0020900 000000A0
	s_load_dword s37, s[0:1], 0xb0                             // 000000002068: C0020940 000000B0
	v_lshrrev_b32_e32 v1, 10, v0                               // 000000002070: 2002008A
	v_lshrrev_b32_e32 v2, 10, v1                               // 000000002074: 2004028A
	v_and_b32_e32 v2, 0x3ff, v2                                // 000000002078: 260404FF 000003FF
	v_and_b32_e32 v1, 0x3ff, v1                                // 000000002080: 260202FF 000003FF
	v_and_b32_e32 v0, 0x3ff, v0                                // 000000002088: 260000FF 000003FF
	v_lshrrev_b32_e32 v3, 6, v0                                // 000000002090: 20060086
	v_and_b32_e32 v0, 63, v0                                   // 000000002094: 260000BF
	s_mov_b32 s6, s2                                           // 000000002098: BE860002
	s_mov_b32 s7, s3                                           // 00000000209C: BE870003
	v_readfirstlane_b32 s5, v3                                 // 0000000020A0: 7E0A0503
	s_waitcnt lgkmcnt(0)                                       // 0000000020A4: BF8CC07F
	s_mov_b32 s26, 0x80000000                                  // 0000000020A8: BE9A00FF 80000000
	s_mov_b32 s30, 0x80000000                                  // 0000000020B0: BE9E00FF 80000000
	s_mov_b32 s23, 0x20000                                     // 0000000020B8: BE9700FF 00020000
	s_mov_b32 s27, 0x20000                                     // 0000000020C0: BE9B00FF 00020000
	s_mov_b32 s31, 0x20000                                     // 0000000020C8: BE9F00FF 00020000
	s_and_b32 s25, s25, 0xffff                                 // 0000000020D0: 8619FF19 0000FFFF
	s_and_b32 s29, s29, 0xffff                                 // 0000000020D8: 861DFF1D 0000FFFF
	s_or_b32 s25, s25, 0x40000                                 // 0000000020E0: 8719FF19 00040000
	s_or_b32 s29, s29, 0x40000                                 // 0000000020E8: 871DFF1D 00040000
	s_mul_i32 s52, s7, 0x70                                    // 0000000020F0: 9234FF07 00000070
	s_mul_i32 s53, s52, 4                                      // 0000000020F8: 92358434
	s_add_u32 s20, s20, s53                                    // 0000000020FC: 80143514
	s_addc_u32 s21, s21, 0                                     // 000000002100: 82158015
	s_sub_i32 s53, s32, s52                                    // 000000002104: 81B53420
	s_cmp_lt_u32 s53, 0x70                                     // 000000002108: BF0AFF35 00000070
	s_cselect_b32 s52, s53, 0x70                               // 000000002110: 8534FF35 00000070
	s_mul_i32 s53, s52, 4                                      // 000000002118: 92358434
	s_mov_b32 s22, s53                                         // 00000000211C: BE960035
	s_mul_i32 s52, 0x70, s7                                    // 000000002120: 923407FF 00000070
	v_and_b32_e64 v208, v0, 15                                 // 000000002128: D11300D0 00011F00
	v_lshlrev_b32_e32 v208, 2, v208                            // 000000002130: 25A1A082
	s_mul_i32 s53, 0x100, s6                                   // 000000002134: 923506FF 00000100
	v_and_b32_e32 v135, 3, v0                                  // 00000000213C: 270E0083
	v_lshrrev_b32_e32 v132, 2, v0                              // 000000002140: 21080082
	v_and_b32_e32 v133, 3, v132                                // 000000002144: 270B0883
	v_mul_u32_u24_e32 v133, 64, v133                           // 000000002148: 110B0AC0
	v_lshrrev_b32_e32 v134, 2, v132                            // 00000000214C: 210D0882
	v_mul_u32_u24_e32 v134, 4, v134                            // 000000002150: 110D0C84
	v_add3_u32 v209, v133, v134, v135                          // 000000002154: D1FF00D1 061F0D85
	s_mul_i32 s52, s5, 16                                      // 00000000215C: 92349005
	v_add_u32_e32 v209, s52, v209                              // 000000002160: 69A3A234
	v_add_u32_e32 v209, s53, v209                              // 000000002164: 69A3A235
	v_lshlrev_b32_e32 v209, 2, v209                            // 000000002168: 25A3A282
	v_mov_b32_e32 v210, v209                                   // 00000000216C: 7FA403D1
	buffer_load_dword v116, v208, s[20:23], 0 offen            // 000000002170: E0501000 800574D0
	buffer_load_dword v118, v208, s[20:23], 0 offen offset:64  // 000000002178: E0501040 800576D0
	buffer_load_dword v120, v208, s[20:23], 0 offen offset:128 // 000000002180: E0501080 800578D0
	buffer_load_dword v122, v208, s[20:23], 0 offen offset:192 // 000000002188: E05010C0 80057AD0
	buffer_load_dword v124, v208, s[20:23], 0 offen offset:256 // 000000002190: E0501100 80057CD0
	buffer_load_dword v126, v208, s[20:23], 0 offen offset:320 // 000000002198: E0501140 80057ED0
	buffer_load_dword v128, v208, s[20:23], 0 offen offset:384 // 0000000021A0: E0501180 800580D0
	buffer_load_dword v130, v209, s[24:27], 0 offen            // 0000000021A8: E0501000 800682D1
	buffer_load_dword v131, v210, s[28:31], 0 offen            // 0000000021B0: E0501000 800783D2
	s_mov_b32 s38, 0                                           // 0000000021B8: BEA60080
	s_lshr_b32 s39, s34, 7                                     // 0000000021BC: 8F278722
	s_sub_i32 s40, s39, 1                                      // 0000000021C0: 81A88127
	s_sub_i32 s41, s39, 1                                      // 0000000021C4: 81A98127
	s_mov_b32 s11, 0x20000                                     // 0000000021C8: BE8B00FF 00020000
	s_and_b32 s9, s9, 0xffff                                   // 0000000021D0: 8609FF09 0000FFFF
	s_or_b32 s9, s9, 0x40000                                   // 0000000021D8: 8709FF09 00040000
	s_mul_i32 s52, 0x70, s7                                    // 0000000021E0: 923407FF 00000070
	s_mul_i32 s53, s52, s35                                    // 0000000021E8: 92352334
	s_add_u32 s8, s8, s53                                      // 0000000021EC: 80083508
	s_addc_u32 s9, s9, 0                                       // 0000000021F0: 82098009
	s_sub_i32 s53, s32, s52                                    // 0000000021F4: 81B53420
	s_cmp_lt_u32 s53, 0x70                                     // 0000000021F8: BF0AFF35 00000070
	s_cselect_b32 s53, s53, 0x70                               // 000000002200: 8535FF35 00000070
	s_mul_i32 s52, s35, s53                                    // 000000002208: 92343523
	s_mov_b32 s10, s52                                         // 00000000220C: BE8A0034
	v_lshrrev_b32_e32 v132, 5, v0                              // 000000002210: 21080085
	v_lshlrev_b32_e32 v132, 2, v132                            // 000000002214: 25090882
	v_mul_u32_u24_e32 v132, s35, v132                          // 000000002218: 11090823
	v_and_b32_e32 v133, 31, v0                                 // 00000000221C: 270A009F
	v_lshlrev_b32_e32 v133, 2, v133                            // 000000002220: 250B0A82
	s_mul_i32 s52, s35, s5                                     // 000000002224: 92340523
	v_add3_u32 v184, v132, v133, s52                           // 000000002228: D1FF00B8 00D30B84
	s_mul_i32 s52, s35, 8                                      // 000000002230: 92348823
	s_sub_u32 s52, s52, 0x100                                  // 000000002234: 80B4FF34 00000100
	v_add_u32_e32 v185, s52, v184                              // 00000000223C: 69737034
	v_add_u32_e32 v186, s52, v185                              // 000000002240: 69757234
	v_add_u32_e32 v187, s52, v186                              // 000000002244: 69777434
	s_mul_i32 s52, s35, 32                                     // 000000002248: 9234A023
	v_add_u32_e32 v188, s52, v184                              // 00000000224C: 69797034
	v_add_u32_e32 v189, s52, v185                              // 000000002250: 697B7234
	v_add_u32_e32 v190, s52, v186                              // 000000002254: 697D7434
	v_add_u32_e32 v191, s52, v187                              // 000000002258: 697F7634
	v_add_u32_e32 v192, s52, v188                              // 00000000225C: 69817834
	v_add_u32_e32 v193, s52, v189                              // 000000002260: 69837A34
	v_add_u32_e32 v194, s52, v190                              // 000000002264: 69857C34
	v_add_u32_e32 v195, s52, v191                              // 000000002268: 69877E34
	v_add_u32_e32 v196, s52, v192                              // 00000000226C: 69898034
	v_add_u32_e32 v197, s52, v193                              // 000000002270: 698B8234
	s_mov_b32 s46, 0x80                                        // 000000002274: BEAE00FF 00000080
	s_mul_i32 s52, s5, 0xe20                                   // 00000000227C: 9234FF05 00000E20
	s_add_u32 s44, 0, s52                                      // 000000002284: 802C3480
	s_add_u32 s45, 0x3880, s44                                 // 000000002288: 802D2CFF 00003880
	v_lshrrev_b32_e32 v132, 4, v0                              // 000000002290: 21080084
	v_and_b32_e32 v133, 15, v0                                 // 000000002294: 270A008F
	v_and_b32_e32 v134, 3, v133                                // 000000002298: 270D0A83
	v_lshrrev_b32_e32 v135, 2, v133                            // 00000000229C: 210F0A82
	v_lshlrev_b32_e32 v132, 2, v132                            // 0000000022A0: 25090882
	v_lshlrev_b32_e32 v135, 5, v135                            // 0000000022A4: 250F0E85
	v_mul_u32_u24_e32 v134, 0xe20, v134                        // 0000000022A8: 110D0CFF 00000E20
	v_add_u32_e32 v132, v132, v135                             // 0000000022B0: 69090F84
	v_lshlrev_b32_e32 v132, 2, v132                            // 0000000022B4: 25090882
	v_add_u32_e32 v198, v132, v134                             // 0000000022B8: 698D0D84
	s_and_b32 s13, s13, 0xffff                                 // 0000000022BC: 860DFF0D 0000FFFF
	s_or_b32 s13, s13, 0x40000                                 // 0000000022C4: 870DFF0D 00040000
	s_mov_b32 s14, 0x80000000                                  // 0000000022CC: BE8E00FF 80000000
	s_mov_b32 s15, 0x20000                                     // 0000000022D4: BE8F00FF 00020000
	s_mul_i32 s42, 0x100, s6                                   // 0000000022DC: 922A06FF 00000100
	s_mul_i32 s52, s5, 16                                      // 0000000022E4: 92349005
	s_add_i32 s42, s42, s52                                    // 0000000022E8: 812A342A
	s_mul_i32 s42, s36, s42                                    // 0000000022EC: 922A2A24
	s_lshr_b32 s42, s42, 2                                     // 0000000022F0: 8F2A822A
	v_lshlrev_b32_e32 v200, 2, v0                              // 0000000022F4: 25900082
	v_add_u32_e32 v200, s42, v200                              // 0000000022F8: 6991902A
	v_lshlrev_b32_e32 v200, 2, v200                            // 0000000022FC: 25919082
	s_mov_b32 s47, 0x800                                       // 000000002300: BEAF00FF 00000800
	v_mov_b32_e32 v132, 64                                     // 000000002308: 7F0802C0
	v_mul_u32_u24_e32 v132, s36, v132                          // 00000000230C: 11090824
	v_add_u32_e32 v201, v132, v200                             // 000000002310: 69939184
	v_add_u32_e32 v202, v132, v201                             // 000000002314: 69959384
	;; [unrolled: 1-line block ×3, first 2 shown]
	s_mov_b32 m0, s44                                          // 00000000231C: BEFC002C
	buffer_load_dword v184, s[8:11], 0 offen lds               // 000000002320: E0511000 800200B8
	buffer_load_dword v185, s[8:11], 0 offen offset:256 lds    // 000000002328: E0511100 800200B9
	buffer_load_dword v186, s[8:11], 0 offen offset:512 lds    // 000000002330: E0511200 800200BA
	buffer_load_dword v187, s[8:11], 0 offen offset:768 lds    // 000000002338: E0511300 800200BB
	s_add_i32 m0, m0, 0x400                                    // 000000002340: 817CFF7C 00000400
	buffer_load_dword v188, s[8:11], 0 offen lds               // 000000002348: E0511000 800200BC
	buffer_load_dword v189, s[8:11], 0 offen offset:256 lds    // 000000002350: E0511100 800200BD
	buffer_load_dword v190, s[8:11], 0 offen offset:512 lds    // 000000002358: E0511200 800200BE
	buffer_load_dword v191, s[8:11], 0 offen offset:768 lds    // 000000002360: E0511300 800200BF
	s_add_i32 m0, m0, 0x400                                    // 000000002368: 817CFF7C 00000400
	buffer_load_dword v192, s[8:11], 0 offen lds               // 000000002370: E0511000 800200C0
	buffer_load_dword v193, s[8:11], 0 offen offset:256 lds    // 000000002378: E0511100 800200C1
	buffer_load_dword v194, s[8:11], 0 offen offset:512 lds    // 000000002380: E0511200 800200C2
	buffer_load_dword v195, s[8:11], 0 offen offset:768 lds    // 000000002388: E0511300 800200C3
	s_add_i32 m0, m0, 0x400                                    // 000000002390: 817CFF7C 00000400
	buffer_load_dword v196, s[8:11], 0 offen lds               // 000000002398: E0511000 800200C4
	buffer_load_dword v197, s[8:11], 0 offen offset:256 lds    // 0000000023A0: E0511100 800200C5
	s_cmp_ge_i32 s38, s40                                      // 0000000023A8: BF032826
	s_cselect_b32 s46, 0, s46                                  // 0000000023AC: 852E2E80
	s_add_u32 s8, s46, s8                                      // 0000000023B0: 8008082E
	s_addc_u32 s9, 0, s9                                       // 0000000023B4: 82090980
	s_sub_u32 s10, s10, s46                                    // 0000000023B8: 808A2E0A
	s_sub_i32 s40, s40, 1                                      // 0000000023BC: 81A88128
	buffer_load_dwordx4 a[112:115], v200, s[12:15], 0 offen    // 0000000023C0: E05C1000 808370C8
	buffer_load_dwordx4 a[116:119], v200, s[12:15], 0 offen offset:1024// 0000000023C8: E05C1400 808374C8
	buffer_load_dwordx4 a[120:123], v201, s[12:15], 0 offen    // 0000000023D0: E05C1000 808378C9
	buffer_load_dwordx4 a[124:127], v201, s[12:15], 0 offen offset:1024// 0000000023D8: E05C1400 80837CC9
	buffer_load_dwordx4 a[128:131], v202, s[12:15], 0 offen    // 0000000023E0: E05C1000 808380CA
	buffer_load_dwordx4 a[132:135], v202, s[12:15], 0 offen offset:1024// 0000000023E8: E05C1400 808384CA
	buffer_load_dwordx4 a[136:139], v203, s[12:15], 0 offen    // 0000000023F0: E05C1000 808388CB
	buffer_load_dwordx4 a[140:143], v203, s[12:15], 0 offen offset:1024// 0000000023F8: E05C1400 80838CCB
	s_cmp_ge_i32 s38, s41                                      // 000000002400: BF032926
	s_cselect_b32 s47, 0, s47                                  // 000000002404: 852F2F80
	s_add_u32 s12, s47, s12                                    // 000000002408: 800C0C2F
	s_addc_u32 s13, 0, s13                                     // 00000000240C: 820D0D80
	s_sub_i32 s41, s41, 1                                      // 000000002410: 81A98129
	v_and_b32_e32 v132, 15, v0                                 // 000000002414: 2708008F
	v_mul_u32_u24_e32 v132, 0x120, v132                        // 000000002418: 110908FF 00000120
	v_lshrrev_b32_e32 v133, 4, v0                              // 000000002420: 210A0084
	v_mul_u32_u24_e32 v133, 16, v133                           // 000000002424: 110B0A90
	s_mul_i32 s52, s5, 64                                      // 000000002428: 9234C005
	v_add_u32_e32 v133, s52, v133                              // 00000000242C: 690B0A34
	v_add_u32_e32 v136, v132, v133                             // 000000002430: 69110B84
	v_add_u32_e32 v136, 0x7100, v136                           // 000000002434: 691110FF 00007100
	v_lshrrev_b32_e32 v135, 4, v0                              // 00000000243C: 210E0084
	v_and_b32_e32 v132, 15, v0                                 // 000000002440: 2708008F
	v_lshrrev_b32_e32 v134, 3, v132                            // 000000002444: 210D0883
	v_and_b32_e32 v133, 7, v132                                // 000000002448: 270B0887
	s_mul_i32 s52, s5, 4                                       // 00000000244C: 92348405
	v_add_u32_e32 v132, s52, v135                              // 000000002450: 69090E34
	v_mul_u32_u24_e32 v132, 0x120, v132                        // 000000002454: 110908FF 00000120
	v_lshlrev_b32_e32 v133, 5, v133                            // 00000000245C: 250B0A85
	v_lshlrev_b32_e32 v134, 3, v134                            // 000000002460: 250D0C83
	v_add_u32_e32 v133, v133, v134                             // 000000002464: 690B0D85
	v_add_u32_e32 v137, v132, v133                             // 000000002468: 69130B84
	v_add_u32_e32 v137, 0x7100, v137                           // 00000000246C: 691312FF 00007100
	s_mul_i32 s52, s37, s32                                    // 000000002474: 92342025
	s_mov_b32 s18, s52                                         // 000000002478: BE920034
	s_mov_b32 s19, 0x20000                                     // 00000000247C: BE9300FF 00020000
	s_and_b32 s17, s17, 0xffff                                 // 000000002484: 8611FF11 0000FFFF
	s_or_b32 s17, s17, 0x40000                                 // 00000000248C: 8711FF11 00040000
	v_lshrrev_b32_e32 v135, 4, v0                              // 000000002494: 210E0084
	v_and_b32_e32 v132, 15, v0                                 // 000000002498: 2708008F
	s_mul_i32 s52, s7, 0x70                                    // 00000000249C: 9234FF07 00000070
	s_mul_i32 s53, s5, 4                                       // 0000000024A4: 92358405
	s_add_u32 s52, s52, s53                                    // 0000000024A8: 80343534
	v_add_u32_e32 v133, s52, v135                              // 0000000024AC: 690B0E34
	v_mul_lo_u32 v133, s37, v133                               // 0000000024B0: D2850085 00030A25
	s_mul_i32 s52, s6, 0x200                                   // 0000000024B8: 9234FF06 00000200
	v_mul_lo_u32 v134, 16, v132                                // 0000000024C0: D2850086 00030890
	v_add_u32_e32 v134, s52, v134                              // 0000000024C8: 690D0C34
	v_add_u32_e32 v140, v133, v134                             // 0000000024CC: 69190D85
	s_lshl_b32 s52, s37, 4                                     // 0000000024D0: 8E348425
	v_add_u32_e32 v141, s52, v140                              // 0000000024D4: 691B1834
	v_add_u32_e32 v142, s52, v141                              // 0000000024D8: 691D1A34
	v_add_u32_e32 v143, s52, v142                              // 0000000024DC: 691F1C34
	v_add_u32_e32 v144, s52, v143                              // 0000000024E0: 69211E34
	v_add_u32_e32 v145, s52, v144                              // 0000000024E4: 69232034
	v_add_u32_e32 v146, s52, v145                              // 0000000024E8: 69252234
	s_mov_b32 s48, 0x7060302                                   // 0000000024EC: BEB000FF 07060302
	v_mov_b32_e32 v148, 0xffff0000                             // 0000000024F4: 7F2802FF FFFF0000
	v_mov_b32_e32 v149, 0x7fff0000                             // 0000000024FC: 7F2A02FF 7FFF0000
	v_mov_b32_e32 v150, 0x7fff                                 // 000000002504: 7F2C02FF 00007FFF
	s_waitcnt vmcnt(22)                                        // 00000000250C: BF8C4F76
	v_mov_b32_e32 v117, v116                                   // 000000002510: 7EEA0374
	v_mov_b32_e32 v119, v118                                   // 000000002514: 7EEE0376
	v_mov_b32_e32 v121, v120                                   // 000000002518: 7EF20378
	v_mov_b32_e32 v123, v122                                   // 00000000251C: 7EF6037A
	v_mov_b32_e32 v125, v124                                   // 000000002520: 7EFA037C
	v_mov_b32_e32 v127, v126                                   // 000000002524: 7EFE037E
	v_mov_b32_e32 v129, v128                                   // 000000002528: 7F020380
	v_mov_b32_dpp v152, v130 row_newbcast:0 row_mask:0xf bank_mask:0xf// 00000000252C: 7F3002FA FF015082
	v_mov_b32_dpp v153, v130 row_newbcast:1 row_mask:0xf bank_mask:0xf// 000000002534: 7F3202FA FF015182
	v_mov_b32_dpp v154, v130 row_newbcast:2 row_mask:0xf bank_mask:0xf// 00000000253C: 7F3402FA FF015282
	v_mov_b32_dpp v155, v130 row_newbcast:3 row_mask:0xf bank_mask:0xf// 000000002544: 7F3602FA FF015382
	v_mov_b32_dpp v156, v130 row_newbcast:4 row_mask:0xf bank_mask:0xf// 00000000254C: 7F3802FA FF015482
	v_mov_b32_dpp v157, v130 row_newbcast:5 row_mask:0xf bank_mask:0xf// 000000002554: 7F3A02FA FF015582
	v_mov_b32_dpp v158, v130 row_newbcast:6 row_mask:0xf bank_mask:0xf// 00000000255C: 7F3C02FA FF015682
	v_mov_b32_dpp v159, v130 row_newbcast:7 row_mask:0xf bank_mask:0xf// 000000002564: 7F3E02FA FF015782
	v_mov_b32_dpp v160, v130 row_newbcast:8 row_mask:0xf bank_mask:0xf// 00000000256C: 7F4002FA FF015882
	v_mov_b32_dpp v161, v130 row_newbcast:9 row_mask:0xf bank_mask:0xf// 000000002574: 7F4202FA FF015982
	v_mov_b32_dpp v162, v130 row_newbcast:10 row_mask:0xf bank_mask:0xf// 00000000257C: 7F4402FA FF015A82
	v_mov_b32_dpp v163, v130 row_newbcast:11 row_mask:0xf bank_mask:0xf// 000000002584: 7F4602FA FF015B82
	v_mov_b32_dpp v164, v130 row_newbcast:12 row_mask:0xf bank_mask:0xf// 00000000258C: 7F4802FA FF015C82
	v_mov_b32_dpp v165, v130 row_newbcast:13 row_mask:0xf bank_mask:0xf// 000000002594: 7F4A02FA FF015D82
	v_mov_b32_dpp v166, v130 row_newbcast:14 row_mask:0xf bank_mask:0xf// 00000000259C: 7F4C02FA FF015E82
	v_mov_b32_dpp v167, v130 row_newbcast:15 row_mask:0xf bank_mask:0xf// 0000000025A4: 7F4E02FA FF015F82
	v_mov_b32_dpp v168, v131 row_newbcast:0 row_mask:0xf bank_mask:0xf// 0000000025AC: 7F5002FA FF015083
	v_mov_b32_dpp v169, v131 row_newbcast:1 row_mask:0xf bank_mask:0xf// 0000000025B4: 7F5202FA FF015183
	v_mov_b32_dpp v170, v131 row_newbcast:2 row_mask:0xf bank_mask:0xf// 0000000025BC: 7F5402FA FF015283
	v_mov_b32_dpp v171, v131 row_newbcast:3 row_mask:0xf bank_mask:0xf// 0000000025C4: 7F5602FA FF015383
	v_mov_b32_dpp v172, v131 row_newbcast:4 row_mask:0xf bank_mask:0xf// 0000000025CC: 7F5802FA FF015483
	v_mov_b32_dpp v173, v131 row_newbcast:5 row_mask:0xf bank_mask:0xf// 0000000025D4: 7F5A02FA FF015583
	v_mov_b32_dpp v174, v131 row_newbcast:6 row_mask:0xf bank_mask:0xf// 0000000025DC: 7F5C02FA FF015683
	v_mov_b32_dpp v175, v131 row_newbcast:7 row_mask:0xf bank_mask:0xf// 0000000025E4: 7F5E02FA FF015783
	v_mov_b32_dpp v176, v131 row_newbcast:8 row_mask:0xf bank_mask:0xf// 0000000025EC: 7F6002FA FF015883
	v_mov_b32_dpp v177, v131 row_newbcast:9 row_mask:0xf bank_mask:0xf// 0000000025F4: 7F6202FA FF015983
	v_mov_b32_dpp v178, v131 row_newbcast:10 row_mask:0xf bank_mask:0xf// 0000000025FC: 7F6402FA FF015A83
	v_mov_b32_dpp v179, v131 row_newbcast:11 row_mask:0xf bank_mask:0xf// 000000002604: 7F6602FA FF015B83
	v_mov_b32_dpp v180, v131 row_newbcast:12 row_mask:0xf bank_mask:0xf// 00000000260C: 7F6802FA FF015C83
	v_mov_b32_dpp v181, v131 row_newbcast:13 row_mask:0xf bank_mask:0xf// 000000002614: 7F6A02FA FF015D83
	v_mov_b32_dpp v182, v131 row_newbcast:14 row_mask:0xf bank_mask:0xf// 00000000261C: 7F6C02FA FF015E83
	v_mov_b32_dpp v183, v131 row_newbcast:15 row_mask:0xf bank_mask:0xf// 000000002624: 7F6E02FA FF015F83
	v_mov_b32_e32 v132, 0                                      // 00000000262C: 7F080280
	v_mov_b32_e32 v133, 0                                      // 000000002630: 7F0A0280
	s_waitcnt vmcnt(8)                                         // 000000002634: BF8C0F78
	s_barrier                                                  // 000000002638: BF8A0000
	ds_read_b128 a[0:3], v198                                  // 00000000263C: DBFE0000 000000C6
	v_mfma_i32_16x16x32_i8 v[4:7], v[132:133], v[132:133], 0   // 000000002644: D3D70004 02030984
	ds_read_b128 a[4:7], v198 offset:64                        // 00000000264C: DBFE0040 040000C6
	v_mfma_i32_16x16x32_i8 v[8:11], v[132:133], v[132:133], 0  // 000000002654: D3D70008 02030984
	ds_read_b128 a[8:11], v198 offset:512                      // 00000000265C: DBFE0200 080000C6
	v_mfma_i32_16x16x32_i8 v[12:15], v[132:133], v[132:133], 0 // 000000002664: D3D7000C 02030984
	ds_read_b128 a[12:15], v198 offset:576                     // 00000000266C: DBFE0240 0C0000C6
	v_mfma_i32_16x16x32_i8 v[16:19], v[132:133], v[132:133], 0 // 000000002674: D3D70010 02030984
	ds_read_b128 a[16:19], v198 offset:1024                    // 00000000267C: DBFE0400 100000C6
	v_mfma_i32_16x16x32_i8 v[20:23], v[132:133], v[132:133], 0 // 000000002684: D3D70014 02030984
	ds_read_b128 a[20:23], v198 offset:1088                    // 00000000268C: DBFE0440 140000C6
	v_mfma_i32_16x16x32_i8 v[24:27], v[132:133], v[132:133], 0 // 000000002694: D3D70018 02030984
	ds_read_b128 a[24:27], v198 offset:1536                    // 00000000269C: DBFE0600 180000C6
	v_mfma_i32_16x16x32_i8 v[28:31], v[132:133], v[132:133], 0 // 0000000026A4: D3D7001C 02030984
	ds_read_b128 a[28:31], v198 offset:1600                    // 0000000026AC: DBFE0640 1C0000C6
	v_mfma_i32_16x16x32_i8 v[32:35], v[132:133], v[132:133], 0 // 0000000026B4: D3D70020 02030984
	ds_read_b128 a[32:35], v198 offset:2048                    // 0000000026BC: DBFE0800 200000C6
	v_mfma_i32_16x16x32_i8 v[36:39], v[132:133], v[132:133], 0 // 0000000026C4: D3D70024 02030984
	ds_read_b128 a[36:39], v198 offset:2112                    // 0000000026CC: DBFE0840 240000C6
	v_mfma_i32_16x16x32_i8 v[40:43], v[132:133], v[132:133], 0 // 0000000026D4: D3D70028 02030984
	ds_read_b128 a[40:43], v198 offset:2560                    // 0000000026DC: DBFE0A00 280000C6
	v_mfma_i32_16x16x32_i8 v[44:47], v[132:133], v[132:133], 0 // 0000000026E4: D3D7002C 02030984
	ds_read_b128 a[44:47], v198 offset:2624                    // 0000000026EC: DBFE0A40 2C0000C6
	v_mfma_i32_16x16x32_i8 v[48:51], v[132:133], v[132:133], 0 // 0000000026F4: D3D70030 02030984
	ds_read_b128 a[48:51], v198 offset:3072                    // 0000000026FC: DBFE0C00 300000C6
	v_mfma_i32_16x16x32_i8 v[52:55], v[132:133], v[132:133], 0 // 000000002704: D3D70034 02030984
	ds_read_b128 a[52:55], v198 offset:3136                    // 00000000270C: DBFE0C40 340000C6
	v_mfma_i32_16x16x32_i8 v[56:59], v[132:133], v[132:133], 0 // 000000002714: D3D70038 02030984
	s_mov_b32 m0, s45                                          // 00000000271C: BEFC002D
	buffer_load_dword v184, s[8:11], 0 offen lds               // 000000002720: E0511000 800200B8
	v_mfma_i32_16x16x32_i8 v[60:63], v[132:133], v[132:133], 0 // 000000002728: D3D7003C 02030984
	buffer_load_dword v185, s[8:11], 0 offen offset:256 lds    // 000000002730: E0511100 800200B9
	v_mfma_i32_16x16x32_i8 v[64:67], v[132:133], v[132:133], 0 // 000000002738: D3D70040 02030984
	buffer_load_dword v186, s[8:11], 0 offen offset:512 lds    // 000000002740: E0511200 800200BA
	v_mfma_i32_16x16x32_i8 v[68:71], v[132:133], v[132:133], 0 // 000000002748: D3D70044 02030984
	buffer_load_dword v187, s[8:11], 0 offen offset:768 lds    // 000000002750: E0511300 800200BB
	v_mfma_i32_16x16x32_i8 v[72:75], v[132:133], v[132:133], 0 // 000000002758: D3D70048 02030984
	s_add_i32 m0, m0, 0x400                                    // 000000002760: 817CFF7C 00000400
	buffer_load_dword v188, s[8:11], 0 offen lds               // 000000002768: E0511000 800200BC
	v_mfma_i32_16x16x32_i8 v[76:79], v[132:133], v[132:133], 0 // 000000002770: D3D7004C 02030984
	buffer_load_dword v189, s[8:11], 0 offen offset:256 lds    // 000000002778: E0511100 800200BD
	v_mfma_i32_16x16x32_i8 v[80:83], v[132:133], v[132:133], 0 // 000000002780: D3D70050 02030984
	buffer_load_dword v190, s[8:11], 0 offen offset:512 lds    // 000000002788: E0511200 800200BE
	v_mfma_i32_16x16x32_i8 v[84:87], v[132:133], v[132:133], 0 // 000000002790: D3D70054 02030984
	buffer_load_dword v191, s[8:11], 0 offen offset:768 lds    // 000000002798: E0511300 800200BF
	v_mfma_i32_16x16x32_i8 v[88:91], v[132:133], v[132:133], 0 // 0000000027A0: D3D70058 02030984
	s_add_i32 m0, m0, 0x400                                    // 0000000027A8: 817CFF7C 00000400
	buffer_load_dword v192, s[8:11], 0 offen lds               // 0000000027B0: E0511000 800200C0
	v_mfma_i32_16x16x32_i8 v[92:95], v[132:133], v[132:133], 0 // 0000000027B8: D3D7005C 02030984
	buffer_load_dword v193, s[8:11], 0 offen offset:256 lds    // 0000000027C0: E0511100 800200C1
	v_mfma_i32_16x16x32_i8 v[96:99], v[132:133], v[132:133], 0 // 0000000027C8: D3D70060 02030984
	buffer_load_dword v194, s[8:11], 0 offen offset:512 lds    // 0000000027D0: E0511200 800200C2
	v_mfma_i32_16x16x32_i8 v[100:103], v[132:133], v[132:133], 0// 0000000027D8: D3D70064 02030984
	buffer_load_dword v195, s[8:11], 0 offen offset:768 lds    // 0000000027E0: E0511300 800200C3
	v_mfma_i32_16x16x32_i8 v[104:107], v[132:133], v[132:133], 0// 0000000027E8: D3D70068 02030984
	s_add_i32 m0, m0, 0x400                                    // 0000000027F0: 817CFF7C 00000400
	buffer_load_dword v196, s[8:11], 0 offen lds               // 0000000027F8: E0511000 800200C4
	v_mfma_i32_16x16x32_i8 v[108:111], v[132:133], v[132:133], 0// 000000002800: D3D7006C 02030984
	buffer_load_dword v197, s[8:11], 0 offen offset:256 lds    // 000000002808: E0511100 800200C5
	v_mfma_i32_16x16x32_i8 v[112:115], v[132:133], v[132:133], 0// 000000002810: D3D70070 02030984
	s_cmp_ge_i32 s38, s40                                      // 000000002818: BF032826
	s_cselect_b32 s46, 0, s46                                  // 00000000281C: 852E2E80
	s_add_u32 s8, s46, s8                                      // 000000002820: 8008082E
	s_addc_u32 s9, 0, s9                                       // 000000002824: 82090980
	s_sub_u32 s10, s10, s46                                    // 000000002828: 808A2E0A
	s_sub_i32 s40, s40, 1                                      // 00000000282C: 81A88128
	s_waitcnt vmcnt(18) lgkmcnt(0)                             // 000000002830: BF8C4072
	s_branch 137                                               // 000000002834: BF820089 <_ZN5aiter42I8gemm_bf16_perTokenI8_BpreShuffle_112x256E+0xa5c>
	s_mov_b32 s65, 0                                           // 000000002838: BEC10080
	s_mov_b32 s66, 0                                           // 00000000283C: BEC20080
	s_lshl_b32 s67, s37, 4                                     // 000000002840: 8E438425
	s_mov_b32 s68, 6                                           // 000000002844: BEC40086
	v_cvt_f32_i32_e32 v184, v4                                 // 000000002848: 7F700B04
	v_cvt_f32_i32_e32 v185, v5                                 // 00000000284C: 7F720B05
	v_cvt_f32_i32_e32 v186, v6                                 // 000000002850: 7F740B06
	v_cvt_f32_i32_e32 v187, v7                                 // 000000002854: 7F760B07
	v_cvt_f32_i32_e32 v188, v32                                // 000000002858: 7F780B20
	v_cvt_f32_i32_e32 v189, v33                                // 00000000285C: 7F7A0B21
	v_cvt_f32_i32_e32 v190, v34                                // 000000002860: 7F7C0B22
	v_cvt_f32_i32_e32 v191, v35                                // 000000002864: 7F7E0B23
	v_pk_mul_f32 v[184:185], v[116:117], v[184:185]            // 000000002868: D3B140B8 18037174
	v_pk_mul_f32 v[186:187], v[116:117], v[186:187]            // 000000002870: D3B140BA 18037574
	v_pk_mul_f32 v[188:189], v[116:117], v[188:189]            // 000000002878: D3B140BC 18037974
	v_pk_mul_f32 v[190:191], v[116:117], v[190:191]            // 000000002880: D3B140BE 18037D74
	v_pk_fma_f32 v[184:185], v[184:185], v[152:153], v[168:169]// 000000002888: D3B040B8 1EA331B8
	v_pk_fma_f32 v[186:187], v[186:187], v[154:155], v[170:171]// 000000002890: D3B040BA 1EAB35BA
	v_pk_fma_f32 v[188:189], v[188:189], v[156:157], v[172:173]// 000000002898: D3B040BC 1EB339BC
	v_pk_fma_f32 v[190:191], v[190:191], v[158:159], v[174:175]// 0000000028A0: D3B040BE 1EBB3DBE
	v_perm_b32 v192, v185, v184, s48                           // 0000000028A8: D1ED00C0 00C371B9
	v_perm_b32 v193, v187, v186, s48                           // 0000000028B0: D1ED00C1 00C375BB
	v_perm_b32 v194, v189, v188, s48                           // 0000000028B8: D1ED00C2 00C379BD
	v_perm_b32 v195, v191, v190, s48                           // 0000000028C0: D1ED00C3 00C37DBF
	ds_write_b128 v136, v[192:195]                             // 0000000028C8: D9BE0000 0000C088
	s_set_gpr_idx_on s65, gpr_idx(SRC0)                        // 0000000028D0: BF110141
	v_cvt_f32_i32_e32 v184, v60                                // 0000000028D4: 7F700B3C
	v_cvt_f32_i32_e32 v185, v61                                // 0000000028D8: 7F720B3D
	v_cvt_f32_i32_e32 v186, v62                                // 0000000028DC: 7F740B3E
	v_cvt_f32_i32_e32 v187, v63                                // 0000000028E0: 7F760B3F
	v_cvt_f32_i32_e32 v188, v88                                // 0000000028E4: 7F780B58
	v_cvt_f32_i32_e32 v189, v89                                // 0000000028E8: 7F7A0B59
	v_cvt_f32_i32_e32 v190, v90                                // 0000000028EC: 7F7C0B5A
	v_cvt_f32_i32_e32 v191, v91                                // 0000000028F0: 7F7E0B5B
	s_set_gpr_idx_off                                          // 0000000028F4: BF9C0000
	s_add_u32 s65, s65, 4                                      // 0000000028F8: 80418441
	s_waitcnt lgkmcnt(0)                                       // 0000000028FC: BF8CC07F
	s_barrier                                                  // 000000002900: BF8A0000
	ds_read_b64 v[192:193], v137                               // 000000002904: D8EC0000 C0000089
	ds_read_b64 v[194:195], v137 offset:16                     // 00000000290C: D8EC0010 C2000089
	s_set_gpr_idx_on s66, gpr_idx(SRC0)                        // 000000002914: BF110142
	v_pk_mul_f32 v[184:185], v[116:117], v[184:185]            // 000000002918: D3B140B8 18037174
	v_pk_mul_f32 v[186:187], v[116:117], v[186:187]            // 000000002920: D3B140BA 18037574
	v_pk_mul_f32 v[188:189], v[116:117], v[188:189]            // 000000002928: D3B140BC 18037974
	v_pk_mul_f32 v[190:191], v[116:117], v[190:191]            // 000000002930: D3B140BE 18037D74
	s_set_gpr_idx_off                                          // 000000002938: BF9C0000
	s_add_u32 s66, s66, 2                                      // 00000000293C: 80428242
	v_pk_fma_f32 v[184:185], v[184:185], v[160:161], v[176:177]// 000000002940: D3B040B8 1EC341B8
	v_pk_fma_f32 v[186:187], v[186:187], v[162:163], v[178:179]// 000000002948: D3B040BA 1ECB45BA
	v_pk_fma_f32 v[188:189], v[188:189], v[164:165], v[180:181]// 000000002950: D3B040BC 1ED349BC
	v_pk_fma_f32 v[190:191], v[190:191], v[166:167], v[182:183]// 000000002958: D3B040BE 1EDB4DBE
	v_perm_b32 v196, v185, v184, s48                           // 000000002960: D1ED00C4 00C371B9
	v_perm_b32 v197, v187, v186, s48                           // 000000002968: D1ED00C5 00C375BB
	v_perm_b32 v198, v189, v188, s48                           // 000000002970: D1ED00C6 00C379BD
	v_perm_b32 v199, v191, v190, s48                           // 000000002978: D1ED00C7 00C37DBF
	s_waitcnt lgkmcnt(0)                                       // 000000002980: BF8CC07F
	buffer_store_dwordx4 v[192:195], v140, s[16:19], 0 offen   // 000000002984: E07C1000 8004C08C
	ds_write_b128 v136, v[196:199]                             // 00000000298C: D9BE0000 0000C488
	s_set_gpr_idx_on s65, gpr_idx(SRC0)                        // 000000002994: BF110141
	v_cvt_f32_i32_e32 v184, v4                                 // 000000002998: 7F700B04
	v_cvt_f32_i32_e32 v185, v5                                 // 00000000299C: 7F720B05
	v_cvt_f32_i32_e32 v186, v6                                 // 0000000029A0: 7F740B06
	v_cvt_f32_i32_e32 v187, v7                                 // 0000000029A4: 7F760B07
	v_cvt_f32_i32_e32 v188, v32                                // 0000000029A8: 7F780B20
	v_cvt_f32_i32_e32 v189, v33                                // 0000000029AC: 7F7A0B21
	v_cvt_f32_i32_e32 v190, v34                                // 0000000029B0: 7F7C0B22
	v_cvt_f32_i32_e32 v191, v35                                // 0000000029B4: 7F7E0B23
	s_set_gpr_idx_off                                          // 0000000029B8: BF9C0000
	s_waitcnt lgkmcnt(0)                                       // 0000000029BC: BF8CC07F
	s_barrier                                                  // 0000000029C0: BF8A0000
	ds_read_b64 v[196:197], v137                               // 0000000029C4: D8EC0000 C4000089
	ds_read_b64 v[198:199], v137 offset:16                     // 0000000029CC: D8EC0010 C6000089
	s_set_gpr_idx_on s66, gpr_idx(SRC0)                        // 0000000029D4: BF110142
	v_pk_mul_f32 v[184:185], v[116:117], v[184:185]            // 0000000029D8: D3B140B8 18037174
	v_pk_mul_f32 v[186:187], v[116:117], v[186:187]            // 0000000029E0: D3B140BA 18037574
	v_pk_mul_f32 v[188:189], v[116:117], v[188:189]            // 0000000029E8: D3B140BC 18037974
	v_pk_mul_f32 v[190:191], v[116:117], v[190:191]            // 0000000029F0: D3B140BE 18037D74
	s_set_gpr_idx_off                                          // 0000000029F8: BF9C0000
	v_pk_fma_f32 v[184:185], v[184:185], v[152:153], v[168:169]// 0000000029FC: D3B040B8 1EA331B8
	v_pk_fma_f32 v[186:187], v[186:187], v[154:155], v[170:171]// 000000002A04: D3B040BA 1EAB35BA
	v_pk_fma_f32 v[188:189], v[188:189], v[156:157], v[172:173]// 000000002A0C: D3B040BC 1EB339BC
	v_pk_fma_f32 v[190:191], v[190:191], v[158:159], v[174:175]// 000000002A14: D3B040BE 1EBB3DBE
	v_perm_b32 v192, v185, v184, s48                           // 000000002A1C: D1ED00C0 00C371B9
	v_perm_b32 v193, v187, v186, s48                           // 000000002A24: D1ED00C1 00C375BB
	v_perm_b32 v194, v189, v188, s48                           // 000000002A2C: D1ED00C2 00C379BD
	v_perm_b32 v195, v191, v190, s48                           // 000000002A34: D1ED00C3 00C37DBF
	s_waitcnt lgkmcnt(0)                                       // 000000002A3C: BF8CC07F
	buffer_store_dwordx4 v[196:199], v140, s[16:19], 0 offen offset:256// 000000002A40: E07C1100 8004C48C
	v_add_u32_e32 v140, s67, v140                              // 000000002A48: 69191843
	s_sub_u32 s68, s68, 1                                      // 000000002A4C: 80C48144
	s_cbranch_scc0 65437                                       // 000000002A50: BF84FF9D <_ZN5aiter42I8gemm_bf16_perTokenI8_BpreShuffle_112x256E+0x8c8>
	s_waitcnt vmcnt(0) expcnt(0) lgkmcnt(0)                    // 000000002A54: BF8C0000
	s_endpgm                                                   // 000000002A58: BF810000
	s_cmp_ge_u32 s5, 2                                         // 000000002A5C: BF098205
	s_cbranch_scc1 639                                         // 000000002A60: BF85027F <_ZN5aiter42I8gemm_bf16_perTokenI8_BpreShuffle_112x256E+0x1460>
	v_mfma_i32_16x16x32_i8 v[4:7], a[112:113], a[0:1], v[4:7]  // 000000002A64: D3D70004 1C120170
	buffer_load_dwordx4 a[144:147], v200, s[12:15], 0 offen    // 000000002A6C: E05C1000 808390C8
	v_mfma_i32_16x16x32_i8 v[4:7], a[114:115], a[2:3], v[4:7]  // 000000002A74: D3D70004 1C120572
	v_mfma_i32_16x16x32_i8 v[4:7], a[116:117], a[4:5], v[4:7]  // 000000002A7C: D3D70004 1C120974
	v_mfma_i32_16x16x32_i8 v[4:7], a[118:119], a[6:7], v[4:7]  // 000000002A84: D3D70004 1C120D76
	v_mfma_i32_16x16x32_i8 v[8:11], a[112:113], a[8:9], v[8:11]// 000000002A8C: D3D70008 1C221170
	buffer_load_dwordx4 a[148:151], v200, s[12:15], 0 offen offset:1024// 000000002A94: E05C1400 808394C8
	v_mfma_i32_16x16x32_i8 v[8:11], a[114:115], a[10:11], v[8:11]// 000000002A9C: D3D70008 1C221572
	v_mfma_i32_16x16x32_i8 v[8:11], a[116:117], a[12:13], v[8:11]// 000000002AA4: D3D70008 1C221974
	v_mfma_i32_16x16x32_i8 v[8:11], a[118:119], a[14:15], v[8:11]// 000000002AAC: D3D70008 1C221D76
	v_mfma_i32_16x16x32_i8 v[12:15], a[112:113], a[16:17], v[12:15]// 000000002AB4: D3D7000C 1C322170
	buffer_load_dwordx4 a[152:155], v201, s[12:15], 0 offen    // 000000002ABC: E05C1000 808398C9
	v_mfma_i32_16x16x32_i8 v[12:15], a[114:115], a[18:19], v[12:15]// 000000002AC4: D3D7000C 1C322572
	v_mfma_i32_16x16x32_i8 v[12:15], a[116:117], a[20:21], v[12:15]// 000000002ACC: D3D7000C 1C322974
	v_mfma_i32_16x16x32_i8 v[12:15], a[118:119], a[22:23], v[12:15]// 000000002AD4: D3D7000C 1C322D76
	v_mfma_i32_16x16x32_i8 v[16:19], a[112:113], a[24:25], v[16:19]// 000000002ADC: D3D70010 1C423170
	buffer_load_dwordx4 a[156:159], v201, s[12:15], 0 offen offset:1024// 000000002AE4: E05C1400 80839CC9
	v_mfma_i32_16x16x32_i8 v[16:19], a[114:115], a[26:27], v[16:19]// 000000002AEC: D3D70010 1C423572
	v_mfma_i32_16x16x32_i8 v[16:19], a[116:117], a[28:29], v[16:19]// 000000002AF4: D3D70010 1C423974
	v_mfma_i32_16x16x32_i8 v[16:19], a[118:119], a[30:31], v[16:19]// 000000002AFC: D3D70010 1C423D76
	v_mfma_i32_16x16x32_i8 v[20:23], a[112:113], a[32:33], v[20:23]// 000000002B04: D3D70014 1C524170
	s_waitcnt vmcnt(14)                                        // 000000002B0C: BF8C0F7E
	v_mfma_i32_16x16x32_i8 v[20:23], a[114:115], a[34:35], v[20:23]// 000000002B10: D3D70014 1C524572
	v_mfma_i32_16x16x32_i8 v[20:23], a[116:117], a[36:37], v[20:23]// 000000002B18: D3D70014 1C524974
	v_mfma_i32_16x16x32_i8 v[20:23], a[118:119], a[38:39], v[20:23]// 000000002B20: D3D70014 1C524D76
	v_mfma_i32_16x16x32_i8 v[24:27], a[112:113], a[40:41], v[24:27]// 000000002B28: D3D70018 1C625170
	buffer_load_dwordx4 a[160:163], v202, s[12:15], 0 offen    // 000000002B30: E05C1000 8083A0CA
	v_mfma_i32_16x16x32_i8 v[24:27], a[114:115], a[42:43], v[24:27]// 000000002B38: D3D70018 1C625572
	v_mfma_i32_16x16x32_i8 v[24:27], a[116:117], a[44:45], v[24:27]// 000000002B40: D3D70018 1C625974
	v_mfma_i32_16x16x32_i8 v[24:27], a[118:119], a[46:47], v[24:27]// 000000002B48: D3D70018 1C625D76
	v_mfma_i32_16x16x32_i8 v[28:31], a[112:113], a[48:49], v[28:31]// 000000002B50: D3D7001C 1C726170
	buffer_load_dwordx4 a[164:167], v202, s[12:15], 0 offen offset:1024// 000000002B58: E05C1400 8083A4CA
	v_mfma_i32_16x16x32_i8 v[28:31], a[114:115], a[50:51], v[28:31]// 000000002B60: D3D7001C 1C726572
	v_mfma_i32_16x16x32_i8 v[28:31], a[116:117], a[52:53], v[28:31]// 000000002B68: D3D7001C 1C726974
	v_mfma_i32_16x16x32_i8 v[28:31], a[118:119], a[54:55], v[28:31]// 000000002B70: D3D7001C 1C726D76
	v_mfma_i32_16x16x32_i8 v[32:35], a[120:121], a[0:1], v[32:35]// 000000002B78: D3D70020 1C820178
	buffer_load_dwordx4 a[168:171], v203, s[12:15], 0 offen    // 000000002B80: E05C1000 8083A8CB
	v_mfma_i32_16x16x32_i8 v[32:35], a[122:123], a[2:3], v[32:35]// 000000002B88: D3D70020 1C82057A
	v_mfma_i32_16x16x32_i8 v[32:35], a[124:125], a[4:5], v[32:35]// 000000002B90: D3D70020 1C82097C
	v_mfma_i32_16x16x32_i8 v[32:35], a[126:127], a[6:7], v[32:35]// 000000002B98: D3D70020 1C820D7E
	v_mfma_i32_16x16x32_i8 v[36:39], a[120:121], a[8:9], v[36:39]// 000000002BA0: D3D70024 1C921178
	buffer_load_dwordx4 a[172:175], v203, s[12:15], 0 offen offset:1024// 000000002BA8: E05C1400 8083ACCB
	v_mfma_i32_16x16x32_i8 v[36:39], a[122:123], a[10:11], v[36:39]// 000000002BB0: D3D70024 1C92157A
	v_mfma_i32_16x16x32_i8 v[36:39], a[124:125], a[12:13], v[36:39]// 000000002BB8: D3D70024 1C92197C
	s_waitcnt vmcnt(8)                                         // 000000002BC0: BF8C0F78
	v_mfma_i32_16x16x32_i8 v[36:39], a[126:127], a[14:15], v[36:39]// 000000002BC4: D3D70024 1C921D7E
	v_mfma_i32_16x16x32_i8 v[40:43], a[120:121], a[16:17], v[40:43]// 000000002BCC: D3D70028 1CA22178
	s_barrier                                                  // 000000002BD4: BF8A0000
	v_mfma_i32_16x16x32_i8 v[40:43], a[122:123], a[18:19], v[40:43]// 000000002BD8: D3D70028 1CA2257A
	v_mfma_i32_16x16x32_i8 v[40:43], a[124:125], a[20:21], v[40:43]// 000000002BE0: D3D70028 1CA2297C
	ds_read_b128 a[56:59], v198 offset:14464                   // 000000002BE8: DBFE3880 380000C6
	v_mfma_i32_16x16x32_i8 v[40:43], a[126:127], a[22:23], v[40:43]// 000000002BF0: D3D70028 1CA22D7E
	v_mfma_i32_16x16x32_i8 v[44:47], a[120:121], a[24:25], v[44:47]// 000000002BF8: D3D7002C 1CB23178
	ds_read_b128 a[60:63], v198 offset:14528                   // 000000002C00: DBFE38C0 3C0000C6
	v_mfma_i32_16x16x32_i8 v[44:47], a[122:123], a[26:27], v[44:47]// 000000002C08: D3D7002C 1CB2357A
	v_mfma_i32_16x16x32_i8 v[44:47], a[124:125], a[28:29], v[44:47]// 000000002C10: D3D7002C 1CB2397C
	ds_read_b128 a[64:67], v198 offset:14976                   // 000000002C18: DBFE3A80 400000C6
	v_mfma_i32_16x16x32_i8 v[44:47], a[126:127], a[30:31], v[44:47]// 000000002C20: D3D7002C 1CB23D7E
	v_mfma_i32_16x16x32_i8 v[48:51], a[120:121], a[32:33], v[48:51]// 000000002C28: D3D70030 1CC24178
	ds_read_b128 a[68:71], v198 offset:15040                   // 000000002C30: DBFE3AC0 440000C6
	v_mfma_i32_16x16x32_i8 v[48:51], a[122:123], a[34:35], v[48:51]// 000000002C38: D3D70030 1CC2457A
	v_mfma_i32_16x16x32_i8 v[48:51], a[124:125], a[36:37], v[48:51]// 000000002C40: D3D70030 1CC2497C
	ds_read_b128 a[72:75], v198 offset:15488                   // 000000002C48: DBFE3C80 480000C6
	v_mfma_i32_16x16x32_i8 v[48:51], a[126:127], a[38:39], v[48:51]// 000000002C50: D3D70030 1CC24D7E
	v_mfma_i32_16x16x32_i8 v[52:55], a[120:121], a[40:41], v[52:55]// 000000002C58: D3D70034 1CD25178
	ds_read_b128 a[76:79], v198 offset:15552                   // 000000002C60: DBFE3CC0 4C0000C6
	v_mfma_i32_16x16x32_i8 v[52:55], a[122:123], a[42:43], v[52:55]// 000000002C68: D3D70034 1CD2557A
	v_mfma_i32_16x16x32_i8 v[52:55], a[124:125], a[44:45], v[52:55]// 000000002C70: D3D70034 1CD2597C
	ds_read_b128 a[80:83], v198 offset:16000                   // 000000002C78: DBFE3E80 500000C6
	v_mfma_i32_16x16x32_i8 v[52:55], a[126:127], a[46:47], v[52:55]// 000000002C80: D3D70034 1CD25D7E
	v_mfma_i32_16x16x32_i8 v[56:59], a[120:121], a[48:49], v[56:59]// 000000002C88: D3D70038 1CE26178
	ds_read_b128 a[84:87], v198 offset:16064                   // 000000002C90: DBFE3EC0 540000C6
	v_mfma_i32_16x16x32_i8 v[56:59], a[122:123], a[50:51], v[56:59]// 000000002C98: D3D70038 1CE2657A
	v_mfma_i32_16x16x32_i8 v[56:59], a[124:125], a[52:53], v[56:59]// 000000002CA0: D3D70038 1CE2697C
	ds_read_b128 a[88:91], v198 offset:16512                   // 000000002CA8: DBFE4080 580000C6
	v_mfma_i32_16x16x32_i8 v[56:59], a[126:127], a[54:55], v[56:59]// 000000002CB0: D3D70038 1CE26D7E
	v_mfma_i32_16x16x32_i8 v[60:63], a[128:129], a[0:1], v[60:63]// 000000002CB8: D3D7003C 1CF20180
	ds_read_b128 a[92:95], v198 offset:16576                   // 000000002CC0: DBFE40C0 5C0000C6
	v_mfma_i32_16x16x32_i8 v[60:63], a[130:131], a[2:3], v[60:63]// 000000002CC8: D3D7003C 1CF20582
	v_mfma_i32_16x16x32_i8 v[60:63], a[132:133], a[4:5], v[60:63]// 000000002CD0: D3D7003C 1CF20984
	ds_read_b128 a[96:99], v198 offset:17024                   // 000000002CD8: DBFE4280 600000C6
	v_mfma_i32_16x16x32_i8 v[60:63], a[134:135], a[6:7], v[60:63]// 000000002CE0: D3D7003C 1CF20D86
	v_mfma_i32_16x16x32_i8 v[64:67], a[128:129], a[8:9], v[64:67]// 000000002CE8: D3D70040 1D021180
	ds_read_b128 a[100:103], v198 offset:17088                 // 000000002CF0: DBFE42C0 640000C6
	v_mfma_i32_16x16x32_i8 v[64:67], a[130:131], a[10:11], v[64:67]// 000000002CF8: D3D70040 1D021582
	v_mfma_i32_16x16x32_i8 v[64:67], a[132:133], a[12:13], v[64:67]// 000000002D00: D3D70040 1D021984
	ds_read_b128 a[104:107], v198 offset:17536                 // 000000002D08: DBFE4480 680000C6
	v_mfma_i32_16x16x32_i8 v[64:67], a[134:135], a[14:15], v[64:67]// 000000002D10: D3D70040 1D021D86
	v_mfma_i32_16x16x32_i8 v[68:71], a[128:129], a[16:17], v[68:71]// 000000002D18: D3D70044 1D122180
	ds_read_b128 a[108:111], v198 offset:17600                 // 000000002D20: DBFE44C0 6C0000C6
	v_mfma_i32_16x16x32_i8 v[68:71], a[130:131], a[18:19], v[68:71]// 000000002D28: D3D70044 1D122582
	v_mfma_i32_16x16x32_i8 v[68:71], a[132:133], a[20:21], v[68:71]// 000000002D30: D3D70044 1D122984
	s_mov_b32 m0, s44                                          // 000000002D38: BEFC002C
	buffer_load_dword v184, s[8:11], 0 offen lds               // 000000002D3C: E0511000 800200B8
	v_mfma_i32_16x16x32_i8 v[68:71], a[134:135], a[22:23], v[68:71]// 000000002D44: D3D70044 1D122D86
	v_mfma_i32_16x16x32_i8 v[72:75], a[128:129], a[24:25], v[72:75]// 000000002D4C: D3D70048 1D223180
	buffer_load_dword v185, s[8:11], 0 offen offset:256 lds    // 000000002D54: E0511100 800200B9
	v_mfma_i32_16x16x32_i8 v[72:75], a[130:131], a[26:27], v[72:75]// 000000002D5C: D3D70048 1D223582
	v_mfma_i32_16x16x32_i8 v[72:75], a[132:133], a[28:29], v[72:75]// 000000002D64: D3D70048 1D223984
	buffer_load_dword v186, s[8:11], 0 offen offset:512 lds    // 000000002D6C: E0511200 800200BA
	v_mfma_i32_16x16x32_i8 v[72:75], a[134:135], a[30:31], v[72:75]// 000000002D74: D3D70048 1D223D86
	v_mfma_i32_16x16x32_i8 v[76:79], a[128:129], a[32:33], v[76:79]// 000000002D7C: D3D7004C 1D324180
	buffer_load_dword v187, s[8:11], 0 offen offset:768 lds    // 000000002D84: E0511300 800200BB
	v_mfma_i32_16x16x32_i8 v[76:79], a[130:131], a[34:35], v[76:79]// 000000002D8C: D3D7004C 1D324582
	v_mfma_i32_16x16x32_i8 v[76:79], a[132:133], a[36:37], v[76:79]// 000000002D94: D3D7004C 1D324984
	s_add_i32 m0, m0, 0x400                                    // 000000002D9C: 817CFF7C 00000400
	buffer_load_dword v188, s[8:11], 0 offen lds               // 000000002DA4: E0511000 800200BC
	v_mfma_i32_16x16x32_i8 v[76:79], a[134:135], a[38:39], v[76:79]// 000000002DAC: D3D7004C 1D324D86
	v_mfma_i32_16x16x32_i8 v[80:83], a[128:129], a[40:41], v[80:83]// 000000002DB4: D3D70050 1D425180
	buffer_load_dword v189, s[8:11], 0 offen offset:256 lds    // 000000002DBC: E0511100 800200BD
	v_mfma_i32_16x16x32_i8 v[80:83], a[130:131], a[42:43], v[80:83]// 000000002DC4: D3D70050 1D425582
	v_mfma_i32_16x16x32_i8 v[80:83], a[132:133], a[44:45], v[80:83]// 000000002DCC: D3D70050 1D425984
	buffer_load_dword v190, s[8:11], 0 offen offset:512 lds    // 000000002DD4: E0511200 800200BE
	v_mfma_i32_16x16x32_i8 v[80:83], a[134:135], a[46:47], v[80:83]// 000000002DDC: D3D70050 1D425D86
	v_mfma_i32_16x16x32_i8 v[84:87], a[128:129], a[48:49], v[84:87]// 000000002DE4: D3D70054 1D526180
	buffer_load_dword v191, s[8:11], 0 offen offset:768 lds    // 000000002DEC: E0511300 800200BF
	v_mfma_i32_16x16x32_i8 v[84:87], a[130:131], a[50:51], v[84:87]// 000000002DF4: D3D70054 1D526582
	v_mfma_i32_16x16x32_i8 v[84:87], a[132:133], a[52:53], v[84:87]// 000000002DFC: D3D70054 1D526984
	s_add_i32 m0, m0, 0x400                                    // 000000002E04: 817CFF7C 00000400
	buffer_load_dword v192, s[8:11], 0 offen lds               // 000000002E0C: E0511000 800200C0
	v_mfma_i32_16x16x32_i8 v[84:87], a[134:135], a[54:55], v[84:87]// 000000002E14: D3D70054 1D526D86
	v_mfma_i32_16x16x32_i8 v[88:91], a[136:137], a[0:1], v[88:91]// 000000002E1C: D3D70058 1D620188
	buffer_load_dword v193, s[8:11], 0 offen offset:256 lds    // 000000002E24: E0511100 800200C1
	v_mfma_i32_16x16x32_i8 v[88:91], a[138:139], a[2:3], v[88:91]// 000000002E2C: D3D70058 1D62058A
	v_mfma_i32_16x16x32_i8 v[88:91], a[140:141], a[4:5], v[88:91]// 000000002E34: D3D70058 1D62098C
	buffer_load_dword v194, s[8:11], 0 offen offset:512 lds    // 000000002E3C: E0511200 800200C2
	v_mfma_i32_16x16x32_i8 v[88:91], a[142:143], a[6:7], v[88:91]// 000000002E44: D3D70058 1D620D8E
	v_mfma_i32_16x16x32_i8 v[92:95], a[136:137], a[8:9], v[92:95]// 000000002E4C: D3D7005C 1D721188
	buffer_load_dword v195, s[8:11], 0 offen offset:768 lds    // 000000002E54: E0511300 800200C3
	v_mfma_i32_16x16x32_i8 v[92:95], a[138:139], a[10:11], v[92:95]// 000000002E5C: D3D7005C 1D72158A
	v_mfma_i32_16x16x32_i8 v[92:95], a[140:141], a[12:13], v[92:95]// 000000002E64: D3D7005C 1D72198C
	s_add_i32 m0, m0, 0x400                                    // 000000002E6C: 817CFF7C 00000400
	buffer_load_dword v196, s[8:11], 0 offen lds               // 000000002E74: E0511000 800200C4
	v_mfma_i32_16x16x32_i8 v[92:95], a[142:143], a[14:15], v[92:95]// 000000002E7C: D3D7005C 1D721D8E
	v_mfma_i32_16x16x32_i8 v[96:99], a[136:137], a[16:17], v[96:99]// 000000002E84: D3D70060 1D822188
	buffer_load_dword v197, s[8:11], 0 offen offset:256 lds    // 000000002E8C: E0511100 800200C5
	v_mfma_i32_16x16x32_i8 v[96:99], a[138:139], a[18:19], v[96:99]// 000000002E94: D3D70060 1D82258A
	s_cmp_ge_i32 s38, s40                                      // 000000002E9C: BF032826
	s_cselect_b32 s46, 0, s46                                  // 000000002EA0: 852E2E80
	v_mfma_i32_16x16x32_i8 v[96:99], a[140:141], a[20:21], v[96:99]// 000000002EA4: D3D70060 1D82298C
	s_cmp_ge_i32 s38, s41                                      // 000000002EAC: BF032926
	s_cselect_b32 s47, 0, s47                                  // 000000002EB0: 852F2F80
	v_mfma_i32_16x16x32_i8 v[96:99], a[142:143], a[22:23], v[96:99]// 000000002EB4: D3D70060 1D822D8E
	s_add_u32 s8, s46, s8                                      // 000000002EBC: 8008082E
	s_addc_u32 s9, 0, s9                                       // 000000002EC0: 82090980
	s_sub_u32 s10, s10, s46                                    // 000000002EC4: 808A2E0A
	v_mfma_i32_16x16x32_i8 v[100:103], a[136:137], a[24:25], v[100:103]// 000000002EC8: D3D70064 1D923188
	s_add_u32 s12, s47, s12                                    // 000000002ED0: 800C0C2F
	s_addc_u32 s13, 0, s13                                     // 000000002ED4: 820D0D80
	v_mfma_i32_16x16x32_i8 v[100:103], a[138:139], a[26:27], v[100:103]// 000000002ED8: D3D70064 1D92358A
	s_addk_i32 s38, 0x1                                        // 000000002EE0: B7260001
	v_mfma_i32_16x16x32_i8 v[100:103], a[140:141], a[28:29], v[100:103]// 000000002EE4: D3D70064 1D92398C
	v_mfma_i32_16x16x32_i8 v[100:103], a[142:143], a[30:31], v[100:103]// 000000002EEC: D3D70064 1D923D8E
	v_mfma_i32_16x16x32_i8 v[104:107], a[136:137], a[32:33], v[104:107]// 000000002EF4: D3D70068 1DA24188
	v_mfma_i32_16x16x32_i8 v[104:107], a[138:139], a[34:35], v[104:107]// 000000002EFC: D3D70068 1DA2458A
	v_mfma_i32_16x16x32_i8 v[104:107], a[140:141], a[36:37], v[104:107]// 000000002F04: D3D70068 1DA2498C
	v_mfma_i32_16x16x32_i8 v[104:107], a[142:143], a[38:39], v[104:107]// 000000002F0C: D3D70068 1DA24D8E
	v_mfma_i32_16x16x32_i8 v[108:111], a[136:137], a[40:41], v[108:111]// 000000002F14: D3D7006C 1DB25188
	v_mfma_i32_16x16x32_i8 v[108:111], a[138:139], a[42:43], v[108:111]// 000000002F1C: D3D7006C 1DB2558A
	v_mfma_i32_16x16x32_i8 v[108:111], a[140:141], a[44:45], v[108:111]// 000000002F24: D3D7006C 1DB2598C
	v_mfma_i32_16x16x32_i8 v[108:111], a[142:143], a[46:47], v[108:111]// 000000002F2C: D3D7006C 1DB25D8E
	v_mfma_i32_16x16x32_i8 v[112:115], a[136:137], a[48:49], v[112:115]// 000000002F34: D3D70070 1DC26188
	v_mfma_i32_16x16x32_i8 v[112:115], a[138:139], a[50:51], v[112:115]// 000000002F3C: D3D70070 1DC2658A
	v_mfma_i32_16x16x32_i8 v[112:115], a[140:141], a[52:53], v[112:115]// 000000002F44: D3D70070 1DC2698C
	s_waitcnt vmcnt(18) lgkmcnt(0)                             // 000000002F4C: BF8C4072
	v_mfma_i32_16x16x32_i8 v[112:115], a[142:143], a[54:55], v[112:115]// 000000002F50: D3D70070 1DC26D8E
	s_cmp_lt_i32 s38, s39                                      // 000000002F58: BF042726
	s_cbranch_scc0 65078                                       // 000000002F5C: BF84FE36 <_ZN5aiter42I8gemm_bf16_perTokenI8_BpreShuffle_112x256E+0x838>
	v_mfma_i32_16x16x32_i8 v[4:7], a[144:145], a[56:57], v[4:7]// 000000002F60: D3D70004 1C127190
	buffer_load_dwordx4 a[112:115], v200, s[12:15], 0 offen    // 000000002F68: E05C1000 808370C8
	v_mfma_i32_16x16x32_i8 v[4:7], a[146:147], a[58:59], v[4:7]// 000000002F70: D3D70004 1C127592
	v_mfma_i32_16x16x32_i8 v[4:7], a[148:149], a[60:61], v[4:7]// 000000002F78: D3D70004 1C127994
	v_mfma_i32_16x16x32_i8 v[4:7], a[150:151], a[62:63], v[4:7]// 000000002F80: D3D70004 1C127D96
	v_mfma_i32_16x16x32_i8 v[8:11], a[144:145], a[64:65], v[8:11]// 000000002F88: D3D70008 1C228190
	buffer_load_dwordx4 a[116:119], v200, s[12:15], 0 offen offset:1024// 000000002F90: E05C1400 808374C8
	v_mfma_i32_16x16x32_i8 v[8:11], a[146:147], a[66:67], v[8:11]// 000000002F98: D3D70008 1C228592
	v_mfma_i32_16x16x32_i8 v[8:11], a[148:149], a[68:69], v[8:11]// 000000002FA0: D3D70008 1C228994
	v_mfma_i32_16x16x32_i8 v[8:11], a[150:151], a[70:71], v[8:11]// 000000002FA8: D3D70008 1C228D96
	v_mfma_i32_16x16x32_i8 v[12:15], a[144:145], a[72:73], v[12:15]// 000000002FB0: D3D7000C 1C329190
	buffer_load_dwordx4 a[120:123], v201, s[12:15], 0 offen    // 000000002FB8: E05C1000 808378C9
	v_mfma_i32_16x16x32_i8 v[12:15], a[146:147], a[74:75], v[12:15]// 000000002FC0: D3D7000C 1C329592
	v_mfma_i32_16x16x32_i8 v[12:15], a[148:149], a[76:77], v[12:15]// 000000002FC8: D3D7000C 1C329994
	v_mfma_i32_16x16x32_i8 v[12:15], a[150:151], a[78:79], v[12:15]// 000000002FD0: D3D7000C 1C329D96
	v_mfma_i32_16x16x32_i8 v[16:19], a[144:145], a[80:81], v[16:19]// 000000002FD8: D3D70010 1C42A190
	buffer_load_dwordx4 a[124:127], v201, s[12:15], 0 offen offset:1024// 000000002FE0: E05C1400 80837CC9
	v_mfma_i32_16x16x32_i8 v[16:19], a[146:147], a[82:83], v[16:19]// 000000002FE8: D3D70010 1C42A592
	v_mfma_i32_16x16x32_i8 v[16:19], a[148:149], a[84:85], v[16:19]// 000000002FF0: D3D70010 1C42A994
	v_mfma_i32_16x16x32_i8 v[16:19], a[150:151], a[86:87], v[16:19]// 000000002FF8: D3D70010 1C42AD96
	v_mfma_i32_16x16x32_i8 v[20:23], a[144:145], a[88:89], v[20:23]// 000000003000: D3D70014 1C52B190
	s_waitcnt vmcnt(14)                                        // 000000003008: BF8C0F7E
	v_mfma_i32_16x16x32_i8 v[20:23], a[146:147], a[90:91], v[20:23]// 00000000300C: D3D70014 1C52B592
	v_mfma_i32_16x16x32_i8 v[20:23], a[148:149], a[92:93], v[20:23]// 000000003014: D3D70014 1C52B994
	v_mfma_i32_16x16x32_i8 v[20:23], a[150:151], a[94:95], v[20:23]// 00000000301C: D3D70014 1C52BD96
	v_mfma_i32_16x16x32_i8 v[24:27], a[144:145], a[96:97], v[24:27]// 000000003024: D3D70018 1C62C190
	buffer_load_dwordx4 a[128:131], v202, s[12:15], 0 offen    // 00000000302C: E05C1000 808380CA
	v_mfma_i32_16x16x32_i8 v[24:27], a[146:147], a[98:99], v[24:27]// 000000003034: D3D70018 1C62C592
	v_mfma_i32_16x16x32_i8 v[24:27], a[148:149], a[100:101], v[24:27]// 00000000303C: D3D70018 1C62C994
	v_mfma_i32_16x16x32_i8 v[24:27], a[150:151], a[102:103], v[24:27]// 000000003044: D3D70018 1C62CD96
	v_mfma_i32_16x16x32_i8 v[28:31], a[144:145], a[104:105], v[28:31]// 00000000304C: D3D7001C 1C72D190
	buffer_load_dwordx4 a[132:135], v202, s[12:15], 0 offen offset:1024// 000000003054: E05C1400 808384CA
	v_mfma_i32_16x16x32_i8 v[28:31], a[146:147], a[106:107], v[28:31]// 00000000305C: D3D7001C 1C72D592
	v_mfma_i32_16x16x32_i8 v[28:31], a[148:149], a[108:109], v[28:31]// 000000003064: D3D7001C 1C72D994
	v_mfma_i32_16x16x32_i8 v[28:31], a[150:151], a[110:111], v[28:31]// 00000000306C: D3D7001C 1C72DD96
	v_mfma_i32_16x16x32_i8 v[32:35], a[152:153], a[56:57], v[32:35]// 000000003074: D3D70020 1C827198
	buffer_load_dwordx4 a[136:139], v203, s[12:15], 0 offen    // 00000000307C: E05C1000 808388CB
	v_mfma_i32_16x16x32_i8 v[32:35], a[154:155], a[58:59], v[32:35]// 000000003084: D3D70020 1C82759A
	v_mfma_i32_16x16x32_i8 v[32:35], a[156:157], a[60:61], v[32:35]// 00000000308C: D3D70020 1C82799C
	v_mfma_i32_16x16x32_i8 v[32:35], a[158:159], a[62:63], v[32:35]// 000000003094: D3D70020 1C827D9E
	v_mfma_i32_16x16x32_i8 v[36:39], a[152:153], a[64:65], v[36:39]// 00000000309C: D3D70024 1C928198
	buffer_load_dwordx4 a[140:143], v203, s[12:15], 0 offen offset:1024// 0000000030A4: E05C1400 80838CCB
	v_mfma_i32_16x16x32_i8 v[36:39], a[154:155], a[66:67], v[36:39]// 0000000030AC: D3D70024 1C92859A
	v_mfma_i32_16x16x32_i8 v[36:39], a[156:157], a[68:69], v[36:39]// 0000000030B4: D3D70024 1C92899C
	s_waitcnt vmcnt(8)                                         // 0000000030BC: BF8C0F78
	v_mfma_i32_16x16x32_i8 v[36:39], a[158:159], a[70:71], v[36:39]// 0000000030C0: D3D70024 1C928D9E
	v_mfma_i32_16x16x32_i8 v[40:43], a[152:153], a[72:73], v[40:43]// 0000000030C8: D3D70028 1CA29198
	s_barrier                                                  // 0000000030D0: BF8A0000
	v_mfma_i32_16x16x32_i8 v[40:43], a[154:155], a[74:75], v[40:43]// 0000000030D4: D3D70028 1CA2959A
	v_mfma_i32_16x16x32_i8 v[40:43], a[156:157], a[76:77], v[40:43]// 0000000030DC: D3D70028 1CA2999C
	ds_read_b128 a[0:3], v198                                  // 0000000030E4: DBFE0000 000000C6
	v_mfma_i32_16x16x32_i8 v[40:43], a[158:159], a[78:79], v[40:43]// 0000000030EC: D3D70028 1CA29D9E
	v_mfma_i32_16x16x32_i8 v[44:47], a[152:153], a[80:81], v[44:47]// 0000000030F4: D3D7002C 1CB2A198
	ds_read_b128 a[4:7], v198 offset:64                        // 0000000030FC: DBFE0040 040000C6
	v_mfma_i32_16x16x32_i8 v[44:47], a[154:155], a[82:83], v[44:47]// 000000003104: D3D7002C 1CB2A59A
	v_mfma_i32_16x16x32_i8 v[44:47], a[156:157], a[84:85], v[44:47]// 00000000310C: D3D7002C 1CB2A99C
	ds_read_b128 a[8:11], v198 offset:512                      // 000000003114: DBFE0200 080000C6
	v_mfma_i32_16x16x32_i8 v[44:47], a[158:159], a[86:87], v[44:47]// 00000000311C: D3D7002C 1CB2AD9E
	v_mfma_i32_16x16x32_i8 v[48:51], a[152:153], a[88:89], v[48:51]// 000000003124: D3D70030 1CC2B198
	ds_read_b128 a[12:15], v198 offset:576                     // 00000000312C: DBFE0240 0C0000C6
	v_mfma_i32_16x16x32_i8 v[48:51], a[154:155], a[90:91], v[48:51]// 000000003134: D3D70030 1CC2B59A
	v_mfma_i32_16x16x32_i8 v[48:51], a[156:157], a[92:93], v[48:51]// 00000000313C: D3D70030 1CC2B99C
	ds_read_b128 a[16:19], v198 offset:1024                    // 000000003144: DBFE0400 100000C6
	v_mfma_i32_16x16x32_i8 v[48:51], a[158:159], a[94:95], v[48:51]// 00000000314C: D3D70030 1CC2BD9E
	v_mfma_i32_16x16x32_i8 v[52:55], a[152:153], a[96:97], v[52:55]// 000000003154: D3D70034 1CD2C198
	ds_read_b128 a[20:23], v198 offset:1088                    // 00000000315C: DBFE0440 140000C6
	v_mfma_i32_16x16x32_i8 v[52:55], a[154:155], a[98:99], v[52:55]// 000000003164: D3D70034 1CD2C59A
	v_mfma_i32_16x16x32_i8 v[52:55], a[156:157], a[100:101], v[52:55]// 00000000316C: D3D70034 1CD2C99C
	ds_read_b128 a[24:27], v198 offset:1536                    // 000000003174: DBFE0600 180000C6
	v_mfma_i32_16x16x32_i8 v[52:55], a[158:159], a[102:103], v[52:55]// 00000000317C: D3D70034 1CD2CD9E
	v_mfma_i32_16x16x32_i8 v[56:59], a[152:153], a[104:105], v[56:59]// 000000003184: D3D70038 1CE2D198
	ds_read_b128 a[28:31], v198 offset:1600                    // 00000000318C: DBFE0640 1C0000C6
	v_mfma_i32_16x16x32_i8 v[56:59], a[154:155], a[106:107], v[56:59]// 000000003194: D3D70038 1CE2D59A
	v_mfma_i32_16x16x32_i8 v[56:59], a[156:157], a[108:109], v[56:59]// 00000000319C: D3D70038 1CE2D99C
	ds_read_b128 a[32:35], v198 offset:2048                    // 0000000031A4: DBFE0800 200000C6
	v_mfma_i32_16x16x32_i8 v[56:59], a[158:159], a[110:111], v[56:59]// 0000000031AC: D3D70038 1CE2DD9E
	v_mfma_i32_16x16x32_i8 v[60:63], a[160:161], a[56:57], v[60:63]// 0000000031B4: D3D7003C 1CF271A0
	ds_read_b128 a[36:39], v198 offset:2112                    // 0000000031BC: DBFE0840 240000C6
	v_mfma_i32_16x16x32_i8 v[60:63], a[162:163], a[58:59], v[60:63]// 0000000031C4: D3D7003C 1CF275A2
	v_mfma_i32_16x16x32_i8 v[60:63], a[164:165], a[60:61], v[60:63]// 0000000031CC: D3D7003C 1CF279A4
	ds_read_b128 a[40:43], v198 offset:2560                    // 0000000031D4: DBFE0A00 280000C6
	v_mfma_i32_16x16x32_i8 v[60:63], a[166:167], a[62:63], v[60:63]// 0000000031DC: D3D7003C 1CF27DA6
	v_mfma_i32_16x16x32_i8 v[64:67], a[160:161], a[64:65], v[64:67]// 0000000031E4: D3D70040 1D0281A0
	ds_read_b128 a[44:47], v198 offset:2624                    // 0000000031EC: DBFE0A40 2C0000C6
	v_mfma_i32_16x16x32_i8 v[64:67], a[162:163], a[66:67], v[64:67]// 0000000031F4: D3D70040 1D0285A2
	v_mfma_i32_16x16x32_i8 v[64:67], a[164:165], a[68:69], v[64:67]// 0000000031FC: D3D70040 1D0289A4
	ds_read_b128 a[48:51], v198 offset:3072                    // 000000003204: DBFE0C00 300000C6
	v_mfma_i32_16x16x32_i8 v[64:67], a[166:167], a[70:71], v[64:67]// 00000000320C: D3D70040 1D028DA6
	v_mfma_i32_16x16x32_i8 v[68:71], a[160:161], a[72:73], v[68:71]// 000000003214: D3D70044 1D1291A0
	ds_read_b128 a[52:55], v198 offset:3136                    // 00000000321C: DBFE0C40 340000C6
	v_mfma_i32_16x16x32_i8 v[68:71], a[162:163], a[74:75], v[68:71]// 000000003224: D3D70044 1D1295A2
	v_mfma_i32_16x16x32_i8 v[68:71], a[164:165], a[76:77], v[68:71]// 00000000322C: D3D70044 1D1299A4
	s_mov_b32 m0, s45                                          // 000000003234: BEFC002D
	buffer_load_dword v184, s[8:11], 0 offen lds               // 000000003238: E0511000 800200B8
	v_mfma_i32_16x16x32_i8 v[68:71], a[166:167], a[78:79], v[68:71]// 000000003240: D3D70044 1D129DA6
	v_mfma_i32_16x16x32_i8 v[72:75], a[160:161], a[80:81], v[72:75]// 000000003248: D3D70048 1D22A1A0
	buffer_load_dword v185, s[8:11], 0 offen offset:256 lds    // 000000003250: E0511100 800200B9
	v_mfma_i32_16x16x32_i8 v[72:75], a[162:163], a[82:83], v[72:75]// 000000003258: D3D70048 1D22A5A2
	v_mfma_i32_16x16x32_i8 v[72:75], a[164:165], a[84:85], v[72:75]// 000000003260: D3D70048 1D22A9A4
	buffer_load_dword v186, s[8:11], 0 offen offset:512 lds    // 000000003268: E0511200 800200BA
	v_mfma_i32_16x16x32_i8 v[72:75], a[166:167], a[86:87], v[72:75]// 000000003270: D3D70048 1D22ADA6
	v_mfma_i32_16x16x32_i8 v[76:79], a[160:161], a[88:89], v[76:79]// 000000003278: D3D7004C 1D32B1A0
	buffer_load_dword v187, s[8:11], 0 offen offset:768 lds    // 000000003280: E0511300 800200BB
	v_mfma_i32_16x16x32_i8 v[76:79], a[162:163], a[90:91], v[76:79]// 000000003288: D3D7004C 1D32B5A2
	v_mfma_i32_16x16x32_i8 v[76:79], a[164:165], a[92:93], v[76:79]// 000000003290: D3D7004C 1D32B9A4
	s_add_i32 m0, m0, 0x400                                    // 000000003298: 817CFF7C 00000400
	buffer_load_dword v188, s[8:11], 0 offen lds               // 0000000032A0: E0511000 800200BC
	v_mfma_i32_16x16x32_i8 v[76:79], a[166:167], a[94:95], v[76:79]// 0000000032A8: D3D7004C 1D32BDA6
	v_mfma_i32_16x16x32_i8 v[80:83], a[160:161], a[96:97], v[80:83]// 0000000032B0: D3D70050 1D42C1A0
	buffer_load_dword v189, s[8:11], 0 offen offset:256 lds    // 0000000032B8: E0511100 800200BD
	v_mfma_i32_16x16x32_i8 v[80:83], a[162:163], a[98:99], v[80:83]// 0000000032C0: D3D70050 1D42C5A2
	v_mfma_i32_16x16x32_i8 v[80:83], a[164:165], a[100:101], v[80:83]// 0000000032C8: D3D70050 1D42C9A4
	buffer_load_dword v190, s[8:11], 0 offen offset:512 lds    // 0000000032D0: E0511200 800200BE
	v_mfma_i32_16x16x32_i8 v[80:83], a[166:167], a[102:103], v[80:83]// 0000000032D8: D3D70050 1D42CDA6
	v_mfma_i32_16x16x32_i8 v[84:87], a[160:161], a[104:105], v[84:87]// 0000000032E0: D3D70054 1D52D1A0
	buffer_load_dword v191, s[8:11], 0 offen offset:768 lds    // 0000000032E8: E0511300 800200BF
	v_mfma_i32_16x16x32_i8 v[84:87], a[162:163], a[106:107], v[84:87]// 0000000032F0: D3D70054 1D52D5A2
	v_mfma_i32_16x16x32_i8 v[84:87], a[164:165], a[108:109], v[84:87]// 0000000032F8: D3D70054 1D52D9A4
	s_add_i32 m0, m0, 0x400                                    // 000000003300: 817CFF7C 00000400
	buffer_load_dword v192, s[8:11], 0 offen lds               // 000000003308: E0511000 800200C0
	v_mfma_i32_16x16x32_i8 v[84:87], a[166:167], a[110:111], v[84:87]// 000000003310: D3D70054 1D52DDA6
	v_mfma_i32_16x16x32_i8 v[88:91], a[168:169], a[56:57], v[88:91]// 000000003318: D3D70058 1D6271A8
	buffer_load_dword v193, s[8:11], 0 offen offset:256 lds    // 000000003320: E0511100 800200C1
	v_mfma_i32_16x16x32_i8 v[88:91], a[170:171], a[58:59], v[88:91]// 000000003328: D3D70058 1D6275AA
	v_mfma_i32_16x16x32_i8 v[88:91], a[172:173], a[60:61], v[88:91]// 000000003330: D3D70058 1D6279AC
	buffer_load_dword v194, s[8:11], 0 offen offset:512 lds    // 000000003338: E0511200 800200C2
	v_mfma_i32_16x16x32_i8 v[88:91], a[174:175], a[62:63], v[88:91]// 000000003340: D3D70058 1D627DAE
	v_mfma_i32_16x16x32_i8 v[92:95], a[168:169], a[64:65], v[92:95]// 000000003348: D3D7005C 1D7281A8
	buffer_load_dword v195, s[8:11], 0 offen offset:768 lds    // 000000003350: E0511300 800200C3
	v_mfma_i32_16x16x32_i8 v[92:95], a[170:171], a[66:67], v[92:95]// 000000003358: D3D7005C 1D7285AA
	v_mfma_i32_16x16x32_i8 v[92:95], a[172:173], a[68:69], v[92:95]// 000000003360: D3D7005C 1D7289AC
	s_add_i32 m0, m0, 0x400                                    // 000000003368: 817CFF7C 00000400
	buffer_load_dword v196, s[8:11], 0 offen lds               // 000000003370: E0511000 800200C4
	v_mfma_i32_16x16x32_i8 v[92:95], a[174:175], a[70:71], v[92:95]// 000000003378: D3D7005C 1D728DAE
	v_mfma_i32_16x16x32_i8 v[96:99], a[168:169], a[72:73], v[96:99]// 000000003380: D3D70060 1D8291A8
	buffer_load_dword v197, s[8:11], 0 offen offset:256 lds    // 000000003388: E0511100 800200C5
	v_mfma_i32_16x16x32_i8 v[96:99], a[170:171], a[74:75], v[96:99]// 000000003390: D3D70060 1D8295AA
	s_cmp_ge_i32 s38, s40                                      // 000000003398: BF032826
	s_cselect_b32 s46, 0, s46                                  // 00000000339C: 852E2E80
	v_mfma_i32_16x16x32_i8 v[96:99], a[172:173], a[76:77], v[96:99]// 0000000033A0: D3D70060 1D8299AC
	s_cmp_ge_i32 s38, s41                                      // 0000000033A8: BF032926
	s_cselect_b32 s47, 0, s47                                  // 0000000033AC: 852F2F80
	v_mfma_i32_16x16x32_i8 v[96:99], a[174:175], a[78:79], v[96:99]// 0000000033B0: D3D70060 1D829DAE
	s_add_u32 s8, s46, s8                                      // 0000000033B8: 8008082E
	s_addc_u32 s9, 0, s9                                       // 0000000033BC: 82090980
	s_sub_u32 s10, s10, s46                                    // 0000000033C0: 808A2E0A
	v_mfma_i32_16x16x32_i8 v[100:103], a[168:169], a[80:81], v[100:103]// 0000000033C4: D3D70064 1D92A1A8
	s_add_u32 s12, s47, s12                                    // 0000000033CC: 800C0C2F
	s_addc_u32 s13, 0, s13                                     // 0000000033D0: 820D0D80
	v_mfma_i32_16x16x32_i8 v[100:103], a[170:171], a[82:83], v[100:103]// 0000000033D4: D3D70064 1D92A5AA
	s_addk_i32 s38, 0x1                                        // 0000000033DC: B7260001
	v_mfma_i32_16x16x32_i8 v[100:103], a[172:173], a[84:85], v[100:103]// 0000000033E0: D3D70064 1D92A9AC
	v_mfma_i32_16x16x32_i8 v[100:103], a[174:175], a[86:87], v[100:103]// 0000000033E8: D3D70064 1D92ADAE
	v_mfma_i32_16x16x32_i8 v[104:107], a[168:169], a[88:89], v[104:107]// 0000000033F0: D3D70068 1DA2B1A8
	v_mfma_i32_16x16x32_i8 v[104:107], a[170:171], a[90:91], v[104:107]// 0000000033F8: D3D70068 1DA2B5AA
	v_mfma_i32_16x16x32_i8 v[104:107], a[172:173], a[92:93], v[104:107]// 000000003400: D3D70068 1DA2B9AC
	v_mfma_i32_16x16x32_i8 v[104:107], a[174:175], a[94:95], v[104:107]// 000000003408: D3D70068 1DA2BDAE
	v_mfma_i32_16x16x32_i8 v[108:111], a[168:169], a[96:97], v[108:111]// 000000003410: D3D7006C 1DB2C1A8
	v_mfma_i32_16x16x32_i8 v[108:111], a[170:171], a[98:99], v[108:111]// 000000003418: D3D7006C 1DB2C5AA
	v_mfma_i32_16x16x32_i8 v[108:111], a[172:173], a[100:101], v[108:111]// 000000003420: D3D7006C 1DB2C9AC
	v_mfma_i32_16x16x32_i8 v[108:111], a[174:175], a[102:103], v[108:111]// 000000003428: D3D7006C 1DB2CDAE
	v_mfma_i32_16x16x32_i8 v[112:115], a[168:169], a[104:105], v[112:115]// 000000003430: D3D70070 1DC2D1A8
	v_mfma_i32_16x16x32_i8 v[112:115], a[170:171], a[106:107], v[112:115]// 000000003438: D3D70070 1DC2D5AA
	v_mfma_i32_16x16x32_i8 v[112:115], a[172:173], a[108:109], v[112:115]// 000000003440: D3D70070 1DC2D9AC
	s_waitcnt vmcnt(18) lgkmcnt(0)                             // 000000003448: BF8C4072
	v_mfma_i32_16x16x32_i8 v[112:115], a[174:175], a[110:111], v[112:115]// 00000000344C: D3D70070 1DC2DDAE
	s_cmp_lt_i32 s38, s39                                      // 000000003454: BF042726
	s_cbranch_scc0 64759                                       // 000000003458: BF84FCF7 <_ZN5aiter42I8gemm_bf16_perTokenI8_BpreShuffle_112x256E+0x838>
	s_branch 64897                                             // 00000000345C: BF82FD81 <_ZN5aiter42I8gemm_bf16_perTokenI8_BpreShuffle_112x256E+0xa64>
	v_mfma_i32_16x16x32_i8 v[4:7], a[112:113], a[0:1], v[4:7]  // 000000003460: D3D70004 1C120170
	v_mfma_i32_16x16x32_i8 v[4:7], a[114:115], a[2:3], v[4:7]  // 000000003468: D3D70004 1C120572
	v_mfma_i32_16x16x32_i8 v[4:7], a[116:117], a[4:5], v[4:7]  // 000000003470: D3D70004 1C120974
	buffer_load_dwordx4 a[144:147], v200, s[12:15], 0 offen    // 000000003478: E05C1000 808390C8
	v_mfma_i32_16x16x32_i8 v[4:7], a[118:119], a[6:7], v[4:7]  // 000000003480: D3D70004 1C120D76
	v_mfma_i32_16x16x32_i8 v[8:11], a[112:113], a[8:9], v[8:11]// 000000003488: D3D70008 1C221170
	v_mfma_i32_16x16x32_i8 v[8:11], a[114:115], a[10:11], v[8:11]// 000000003490: D3D70008 1C221572
	v_mfma_i32_16x16x32_i8 v[8:11], a[116:117], a[12:13], v[8:11]// 000000003498: D3D70008 1C221974
	buffer_load_dwordx4 a[148:151], v200, s[12:15], 0 offen offset:1024// 0000000034A0: E05C1400 808394C8
	v_mfma_i32_16x16x32_i8 v[8:11], a[118:119], a[14:15], v[8:11]// 0000000034A8: D3D70008 1C221D76
	v_mfma_i32_16x16x32_i8 v[12:15], a[112:113], a[16:17], v[12:15]// 0000000034B0: D3D7000C 1C322170
	v_mfma_i32_16x16x32_i8 v[12:15], a[114:115], a[18:19], v[12:15]// 0000000034B8: D3D7000C 1C322572
	v_mfma_i32_16x16x32_i8 v[12:15], a[116:117], a[20:21], v[12:15]// 0000000034C0: D3D7000C 1C322974
	buffer_load_dwordx4 a[152:155], v201, s[12:15], 0 offen    // 0000000034C8: E05C1000 808398C9
	v_mfma_i32_16x16x32_i8 v[12:15], a[118:119], a[22:23], v[12:15]// 0000000034D0: D3D7000C 1C322D76
	v_mfma_i32_16x16x32_i8 v[16:19], a[112:113], a[24:25], v[16:19]// 0000000034D8: D3D70010 1C423170
	v_mfma_i32_16x16x32_i8 v[16:19], a[114:115], a[26:27], v[16:19]// 0000000034E0: D3D70010 1C423572
	v_mfma_i32_16x16x32_i8 v[16:19], a[116:117], a[28:29], v[16:19]// 0000000034E8: D3D70010 1C423974
	buffer_load_dwordx4 a[156:159], v201, s[12:15], 0 offen offset:1024// 0000000034F0: E05C1400 80839CC9
	v_mfma_i32_16x16x32_i8 v[16:19], a[118:119], a[30:31], v[16:19]// 0000000034F8: D3D70010 1C423D76
	v_mfma_i32_16x16x32_i8 v[20:23], a[112:113], a[32:33], v[20:23]// 000000003500: D3D70014 1C524170
	v_mfma_i32_16x16x32_i8 v[20:23], a[114:115], a[34:35], v[20:23]// 000000003508: D3D70014 1C524572
	s_waitcnt vmcnt(14)                                        // 000000003510: BF8C0F7E
	v_mfma_i32_16x16x32_i8 v[20:23], a[116:117], a[36:37], v[20:23]// 000000003514: D3D70014 1C524974
	buffer_load_dwordx4 a[160:163], v202, s[12:15], 0 offen    // 00000000351C: E05C1000 8083A0CA
	v_mfma_i32_16x16x32_i8 v[20:23], a[118:119], a[38:39], v[20:23]// 000000003524: D3D70014 1C524D76
	v_mfma_i32_16x16x32_i8 v[24:27], a[112:113], a[40:41], v[24:27]// 00000000352C: D3D70018 1C625170
	v_mfma_i32_16x16x32_i8 v[24:27], a[114:115], a[42:43], v[24:27]// 000000003534: D3D70018 1C625572
	v_mfma_i32_16x16x32_i8 v[24:27], a[116:117], a[44:45], v[24:27]// 00000000353C: D3D70018 1C625974
	buffer_load_dwordx4 a[164:167], v202, s[12:15], 0 offen offset:1024// 000000003544: E05C1400 8083A4CA
	v_mfma_i32_16x16x32_i8 v[24:27], a[118:119], a[46:47], v[24:27]// 00000000354C: D3D70018 1C625D76
	v_mfma_i32_16x16x32_i8 v[28:31], a[112:113], a[48:49], v[28:31]// 000000003554: D3D7001C 1C726170
	v_mfma_i32_16x16x32_i8 v[28:31], a[114:115], a[50:51], v[28:31]// 00000000355C: D3D7001C 1C726572
	v_mfma_i32_16x16x32_i8 v[28:31], a[116:117], a[52:53], v[28:31]// 000000003564: D3D7001C 1C726974
	buffer_load_dwordx4 a[168:171], v203, s[12:15], 0 offen    // 00000000356C: E05C1000 8083A8CB
	v_mfma_i32_16x16x32_i8 v[28:31], a[118:119], a[54:55], v[28:31]// 000000003574: D3D7001C 1C726D76
	v_mfma_i32_16x16x32_i8 v[32:35], a[120:121], a[0:1], v[32:35]// 00000000357C: D3D70020 1C820178
	v_mfma_i32_16x16x32_i8 v[32:35], a[122:123], a[2:3], v[32:35]// 000000003584: D3D70020 1C82057A
	v_mfma_i32_16x16x32_i8 v[32:35], a[124:125], a[4:5], v[32:35]// 00000000358C: D3D70020 1C82097C
	buffer_load_dwordx4 a[172:175], v203, s[12:15], 0 offen offset:1024// 000000003594: E05C1400 8083ACCB
	v_mfma_i32_16x16x32_i8 v[32:35], a[126:127], a[6:7], v[32:35]// 00000000359C: D3D70020 1C820D7E
	v_mfma_i32_16x16x32_i8 v[36:39], a[120:121], a[8:9], v[36:39]// 0000000035A4: D3D70024 1C921178
	v_mfma_i32_16x16x32_i8 v[36:39], a[122:123], a[10:11], v[36:39]// 0000000035AC: D3D70024 1C92157A
	v_mfma_i32_16x16x32_i8 v[36:39], a[124:125], a[12:13], v[36:39]// 0000000035B4: D3D70024 1C92197C
	v_mfma_i32_16x16x32_i8 v[36:39], a[126:127], a[14:15], v[36:39]// 0000000035BC: D3D70024 1C921D7E
	s_waitcnt vmcnt(8)                                         // 0000000035C4: BF8C0F78
	v_mfma_i32_16x16x32_i8 v[40:43], a[120:121], a[16:17], v[40:43]// 0000000035C8: D3D70028 1CA22178
	s_barrier                                                  // 0000000035D0: BF8A0000
	v_mfma_i32_16x16x32_i8 v[40:43], a[122:123], a[18:19], v[40:43]// 0000000035D4: D3D70028 1CA2257A
	ds_read_b128 a[56:59], v198 offset:14464                   // 0000000035DC: DBFE3880 380000C6
	v_mfma_i32_16x16x32_i8 v[40:43], a[124:125], a[20:21], v[40:43]// 0000000035E4: D3D70028 1CA2297C
	v_mfma_i32_16x16x32_i8 v[40:43], a[126:127], a[22:23], v[40:43]// 0000000035EC: D3D70028 1CA22D7E
	ds_read_b128 a[60:63], v198 offset:14528                   // 0000000035F4: DBFE38C0 3C0000C6
	v_mfma_i32_16x16x32_i8 v[44:47], a[120:121], a[24:25], v[44:47]// 0000000035FC: D3D7002C 1CB23178
	v_mfma_i32_16x16x32_i8 v[44:47], a[122:123], a[26:27], v[44:47]// 000000003604: D3D7002C 1CB2357A
	ds_read_b128 a[64:67], v198 offset:14976                   // 00000000360C: DBFE3A80 400000C6
	v_mfma_i32_16x16x32_i8 v[44:47], a[124:125], a[28:29], v[44:47]// 000000003614: D3D7002C 1CB2397C
	v_mfma_i32_16x16x32_i8 v[44:47], a[126:127], a[30:31], v[44:47]// 00000000361C: D3D7002C 1CB23D7E
	ds_read_b128 a[68:71], v198 offset:15040                   // 000000003624: DBFE3AC0 440000C6
	v_mfma_i32_16x16x32_i8 v[48:51], a[120:121], a[32:33], v[48:51]// 00000000362C: D3D70030 1CC24178
	v_mfma_i32_16x16x32_i8 v[48:51], a[122:123], a[34:35], v[48:51]// 000000003634: D3D70030 1CC2457A
	ds_read_b128 a[72:75], v198 offset:15488                   // 00000000363C: DBFE3C80 480000C6
	v_mfma_i32_16x16x32_i8 v[48:51], a[124:125], a[36:37], v[48:51]// 000000003644: D3D70030 1CC2497C
	v_mfma_i32_16x16x32_i8 v[48:51], a[126:127], a[38:39], v[48:51]// 00000000364C: D3D70030 1CC24D7E
	ds_read_b128 a[76:79], v198 offset:15552                   // 000000003654: DBFE3CC0 4C0000C6
	v_mfma_i32_16x16x32_i8 v[52:55], a[120:121], a[40:41], v[52:55]// 00000000365C: D3D70034 1CD25178
	v_mfma_i32_16x16x32_i8 v[52:55], a[122:123], a[42:43], v[52:55]// 000000003664: D3D70034 1CD2557A
	ds_read_b128 a[80:83], v198 offset:16000                   // 00000000366C: DBFE3E80 500000C6
	v_mfma_i32_16x16x32_i8 v[52:55], a[124:125], a[44:45], v[52:55]// 000000003674: D3D70034 1CD2597C
	v_mfma_i32_16x16x32_i8 v[52:55], a[126:127], a[46:47], v[52:55]// 00000000367C: D3D70034 1CD25D7E
	ds_read_b128 a[84:87], v198 offset:16064                   // 000000003684: DBFE3EC0 540000C6
	v_mfma_i32_16x16x32_i8 v[56:59], a[120:121], a[48:49], v[56:59]// 00000000368C: D3D70038 1CE26178
	v_mfma_i32_16x16x32_i8 v[56:59], a[122:123], a[50:51], v[56:59]// 000000003694: D3D70038 1CE2657A
	ds_read_b128 a[88:91], v198 offset:16512                   // 00000000369C: DBFE4080 580000C6
	v_mfma_i32_16x16x32_i8 v[56:59], a[124:125], a[52:53], v[56:59]// 0000000036A4: D3D70038 1CE2697C
	v_mfma_i32_16x16x32_i8 v[56:59], a[126:127], a[54:55], v[56:59]// 0000000036AC: D3D70038 1CE26D7E
	ds_read_b128 a[92:95], v198 offset:16576                   // 0000000036B4: DBFE40C0 5C0000C6
	v_mfma_i32_16x16x32_i8 v[60:63], a[128:129], a[0:1], v[60:63]// 0000000036BC: D3D7003C 1CF20180
	v_mfma_i32_16x16x32_i8 v[60:63], a[130:131], a[2:3], v[60:63]// 0000000036C4: D3D7003C 1CF20582
	ds_read_b128 a[96:99], v198 offset:17024                   // 0000000036CC: DBFE4280 600000C6
	v_mfma_i32_16x16x32_i8 v[60:63], a[132:133], a[4:5], v[60:63]// 0000000036D4: D3D7003C 1CF20984
	v_mfma_i32_16x16x32_i8 v[60:63], a[134:135], a[6:7], v[60:63]// 0000000036DC: D3D7003C 1CF20D86
	ds_read_b128 a[100:103], v198 offset:17088                 // 0000000036E4: DBFE42C0 640000C6
	v_mfma_i32_16x16x32_i8 v[64:67], a[128:129], a[8:9], v[64:67]// 0000000036EC: D3D70040 1D021180
	v_mfma_i32_16x16x32_i8 v[64:67], a[130:131], a[10:11], v[64:67]// 0000000036F4: D3D70040 1D021582
	ds_read_b128 a[104:107], v198 offset:17536                 // 0000000036FC: DBFE4480 680000C6
	v_mfma_i32_16x16x32_i8 v[64:67], a[132:133], a[12:13], v[64:67]// 000000003704: D3D70040 1D021984
	v_mfma_i32_16x16x32_i8 v[64:67], a[134:135], a[14:15], v[64:67]// 00000000370C: D3D70040 1D021D86
	ds_read_b128 a[108:111], v198 offset:17600                 // 000000003714: DBFE44C0 6C0000C6
	v_mfma_i32_16x16x32_i8 v[68:71], a[128:129], a[16:17], v[68:71]// 00000000371C: D3D70044 1D122180
	v_mfma_i32_16x16x32_i8 v[68:71], a[130:131], a[18:19], v[68:71]// 000000003724: D3D70044 1D122582
	s_mov_b32 m0, s44                                          // 00000000372C: BEFC002C
	buffer_load_dword v184, s[8:11], 0 offen lds               // 000000003730: E0511000 800200B8
	v_mfma_i32_16x16x32_i8 v[68:71], a[132:133], a[20:21], v[68:71]// 000000003738: D3D70044 1D122984
	v_mfma_i32_16x16x32_i8 v[68:71], a[134:135], a[22:23], v[68:71]// 000000003740: D3D70044 1D122D86
	buffer_load_dword v185, s[8:11], 0 offen offset:256 lds    // 000000003748: E0511100 800200B9
	v_mfma_i32_16x16x32_i8 v[72:75], a[128:129], a[24:25], v[72:75]// 000000003750: D3D70048 1D223180
	v_mfma_i32_16x16x32_i8 v[72:75], a[130:131], a[26:27], v[72:75]// 000000003758: D3D70048 1D223582
	buffer_load_dword v186, s[8:11], 0 offen offset:512 lds    // 000000003760: E0511200 800200BA
	v_mfma_i32_16x16x32_i8 v[72:75], a[132:133], a[28:29], v[72:75]// 000000003768: D3D70048 1D223984
	v_mfma_i32_16x16x32_i8 v[72:75], a[134:135], a[30:31], v[72:75]// 000000003770: D3D70048 1D223D86
	buffer_load_dword v187, s[8:11], 0 offen offset:768 lds    // 000000003778: E0511300 800200BB
	v_mfma_i32_16x16x32_i8 v[76:79], a[128:129], a[32:33], v[76:79]// 000000003780: D3D7004C 1D324180
	v_mfma_i32_16x16x32_i8 v[76:79], a[130:131], a[34:35], v[76:79]// 000000003788: D3D7004C 1D324582
	s_add_i32 m0, m0, 0x400                                    // 000000003790: 817CFF7C 00000400
	buffer_load_dword v188, s[8:11], 0 offen lds               // 000000003798: E0511000 800200BC
	v_mfma_i32_16x16x32_i8 v[76:79], a[132:133], a[36:37], v[76:79]// 0000000037A0: D3D7004C 1D324984
	v_mfma_i32_16x16x32_i8 v[76:79], a[134:135], a[38:39], v[76:79]// 0000000037A8: D3D7004C 1D324D86
	buffer_load_dword v189, s[8:11], 0 offen offset:256 lds    // 0000000037B0: E0511100 800200BD
	v_mfma_i32_16x16x32_i8 v[80:83], a[128:129], a[40:41], v[80:83]// 0000000037B8: D3D70050 1D425180
	v_mfma_i32_16x16x32_i8 v[80:83], a[130:131], a[42:43], v[80:83]// 0000000037C0: D3D70050 1D425582
	buffer_load_dword v190, s[8:11], 0 offen offset:512 lds    // 0000000037C8: E0511200 800200BE
	v_mfma_i32_16x16x32_i8 v[80:83], a[132:133], a[44:45], v[80:83]// 0000000037D0: D3D70050 1D425984
	v_mfma_i32_16x16x32_i8 v[80:83], a[134:135], a[46:47], v[80:83]// 0000000037D8: D3D70050 1D425D86
	buffer_load_dword v191, s[8:11], 0 offen offset:768 lds    // 0000000037E0: E0511300 800200BF
	v_mfma_i32_16x16x32_i8 v[84:87], a[128:129], a[48:49], v[84:87]// 0000000037E8: D3D70054 1D526180
	v_mfma_i32_16x16x32_i8 v[84:87], a[130:131], a[50:51], v[84:87]// 0000000037F0: D3D70054 1D526582
	s_add_i32 m0, m0, 0x400                                    // 0000000037F8: 817CFF7C 00000400
	buffer_load_dword v192, s[8:11], 0 offen lds               // 000000003800: E0511000 800200C0
	v_mfma_i32_16x16x32_i8 v[84:87], a[132:133], a[52:53], v[84:87]// 000000003808: D3D70054 1D526984
	v_mfma_i32_16x16x32_i8 v[84:87], a[134:135], a[54:55], v[84:87]// 000000003810: D3D70054 1D526D86
	buffer_load_dword v193, s[8:11], 0 offen offset:256 lds    // 000000003818: E0511100 800200C1
	v_mfma_i32_16x16x32_i8 v[88:91], a[136:137], a[0:1], v[88:91]// 000000003820: D3D70058 1D620188
	v_mfma_i32_16x16x32_i8 v[88:91], a[138:139], a[2:3], v[88:91]// 000000003828: D3D70058 1D62058A
	buffer_load_dword v194, s[8:11], 0 offen offset:512 lds    // 000000003830: E0511200 800200C2
	v_mfma_i32_16x16x32_i8 v[88:91], a[140:141], a[4:5], v[88:91]// 000000003838: D3D70058 1D62098C
	v_mfma_i32_16x16x32_i8 v[88:91], a[142:143], a[6:7], v[88:91]// 000000003840: D3D70058 1D620D8E
	buffer_load_dword v195, s[8:11], 0 offen offset:768 lds    // 000000003848: E0511300 800200C3
	v_mfma_i32_16x16x32_i8 v[92:95], a[136:137], a[8:9], v[92:95]// 000000003850: D3D7005C 1D721188
	v_mfma_i32_16x16x32_i8 v[92:95], a[138:139], a[10:11], v[92:95]// 000000003858: D3D7005C 1D72158A
	s_add_i32 m0, m0, 0x400                                    // 000000003860: 817CFF7C 00000400
	buffer_load_dword v196, s[8:11], 0 offen lds               // 000000003868: E0511000 800200C4
	v_mfma_i32_16x16x32_i8 v[92:95], a[140:141], a[12:13], v[92:95]// 000000003870: D3D7005C 1D72198C
	v_mfma_i32_16x16x32_i8 v[92:95], a[142:143], a[14:15], v[92:95]// 000000003878: D3D7005C 1D721D8E
	buffer_load_dword v197, s[8:11], 0 offen offset:256 lds    // 000000003880: E0511100 800200C5
	v_mfma_i32_16x16x32_i8 v[96:99], a[136:137], a[16:17], v[96:99]// 000000003888: D3D70060 1D822188
	v_mfma_i32_16x16x32_i8 v[96:99], a[138:139], a[18:19], v[96:99]// 000000003890: D3D70060 1D82258A
	s_cmp_ge_i32 s38, s40                                      // 000000003898: BF032826
	s_cselect_b32 s46, 0, s46                                  // 00000000389C: 852E2E80
	v_mfma_i32_16x16x32_i8 v[96:99], a[140:141], a[20:21], v[96:99]// 0000000038A0: D3D70060 1D82298C
	s_cmp_ge_i32 s38, s41                                      // 0000000038A8: BF032926
	s_cselect_b32 s47, 0, s47                                  // 0000000038AC: 852F2F80
	v_mfma_i32_16x16x32_i8 v[96:99], a[142:143], a[22:23], v[96:99]// 0000000038B0: D3D70060 1D822D8E
	s_add_u32 s8, s46, s8                                      // 0000000038B8: 8008082E
	s_addc_u32 s9, 0, s9                                       // 0000000038BC: 82090980
	s_sub_u32 s10, s10, s46                                    // 0000000038C0: 808A2E0A
	v_mfma_i32_16x16x32_i8 v[100:103], a[136:137], a[24:25], v[100:103]// 0000000038C4: D3D70064 1D923188
	s_add_u32 s12, s47, s12                                    // 0000000038CC: 800C0C2F
	s_addc_u32 s13, 0, s13                                     // 0000000038D0: 820D0D80
	v_mfma_i32_16x16x32_i8 v[100:103], a[138:139], a[26:27], v[100:103]// 0000000038D4: D3D70064 1D92358A
	s_addk_i32 s38, 0x1                                        // 0000000038DC: B7260001
	v_mfma_i32_16x16x32_i8 v[100:103], a[140:141], a[28:29], v[100:103]// 0000000038E0: D3D70064 1D92398C
	v_mfma_i32_16x16x32_i8 v[100:103], a[142:143], a[30:31], v[100:103]// 0000000038E8: D3D70064 1D923D8E
	v_mfma_i32_16x16x32_i8 v[104:107], a[136:137], a[32:33], v[104:107]// 0000000038F0: D3D70068 1DA24188
	v_mfma_i32_16x16x32_i8 v[104:107], a[138:139], a[34:35], v[104:107]// 0000000038F8: D3D70068 1DA2458A
	v_mfma_i32_16x16x32_i8 v[104:107], a[140:141], a[36:37], v[104:107]// 000000003900: D3D70068 1DA2498C
	v_mfma_i32_16x16x32_i8 v[104:107], a[142:143], a[38:39], v[104:107]// 000000003908: D3D70068 1DA24D8E
	v_mfma_i32_16x16x32_i8 v[108:111], a[136:137], a[40:41], v[108:111]// 000000003910: D3D7006C 1DB25188
	v_mfma_i32_16x16x32_i8 v[108:111], a[138:139], a[42:43], v[108:111]// 000000003918: D3D7006C 1DB2558A
	v_mfma_i32_16x16x32_i8 v[108:111], a[140:141], a[44:45], v[108:111]// 000000003920: D3D7006C 1DB2598C
	v_mfma_i32_16x16x32_i8 v[108:111], a[142:143], a[46:47], v[108:111]// 000000003928: D3D7006C 1DB25D8E
	v_mfma_i32_16x16x32_i8 v[112:115], a[136:137], a[48:49], v[112:115]// 000000003930: D3D70070 1DC26188
	v_mfma_i32_16x16x32_i8 v[112:115], a[138:139], a[50:51], v[112:115]// 000000003938: D3D70070 1DC2658A
	s_waitcnt vmcnt(18) lgkmcnt(0)                             // 000000003940: BF8C4072
	v_mfma_i32_16x16x32_i8 v[112:115], a[140:141], a[52:53], v[112:115]// 000000003944: D3D70070 1DC2698C
	v_mfma_i32_16x16x32_i8 v[112:115], a[142:143], a[54:55], v[112:115]// 00000000394C: D3D70070 1DC26D8E
	s_cmp_lt_i32 s38, s39                                      // 000000003954: BF042726
	s_cbranch_scc0 64439                                       // 000000003958: BF84FBB7 <_ZN5aiter42I8gemm_bf16_perTokenI8_BpreShuffle_112x256E+0x838>
	v_mfma_i32_16x16x32_i8 v[4:7], a[144:145], a[56:57], v[4:7]// 00000000395C: D3D70004 1C127190
	v_mfma_i32_16x16x32_i8 v[4:7], a[146:147], a[58:59], v[4:7]// 000000003964: D3D70004 1C127592
	v_mfma_i32_16x16x32_i8 v[4:7], a[148:149], a[60:61], v[4:7]// 00000000396C: D3D70004 1C127994
	buffer_load_dwordx4 a[112:115], v200, s[12:15], 0 offen    // 000000003974: E05C1000 808370C8
	v_mfma_i32_16x16x32_i8 v[4:7], a[150:151], a[62:63], v[4:7]// 00000000397C: D3D70004 1C127D96
	v_mfma_i32_16x16x32_i8 v[8:11], a[144:145], a[64:65], v[8:11]// 000000003984: D3D70008 1C228190
	v_mfma_i32_16x16x32_i8 v[8:11], a[146:147], a[66:67], v[8:11]// 00000000398C: D3D70008 1C228592
	v_mfma_i32_16x16x32_i8 v[8:11], a[148:149], a[68:69], v[8:11]// 000000003994: D3D70008 1C228994
	buffer_load_dwordx4 a[116:119], v200, s[12:15], 0 offen offset:1024// 00000000399C: E05C1400 808374C8
	v_mfma_i32_16x16x32_i8 v[8:11], a[150:151], a[70:71], v[8:11]// 0000000039A4: D3D70008 1C228D96
	v_mfma_i32_16x16x32_i8 v[12:15], a[144:145], a[72:73], v[12:15]// 0000000039AC: D3D7000C 1C329190
	v_mfma_i32_16x16x32_i8 v[12:15], a[146:147], a[74:75], v[12:15]// 0000000039B4: D3D7000C 1C329592
	v_mfma_i32_16x16x32_i8 v[12:15], a[148:149], a[76:77], v[12:15]// 0000000039BC: D3D7000C 1C329994
	buffer_load_dwordx4 a[120:123], v201, s[12:15], 0 offen    // 0000000039C4: E05C1000 808378C9
	v_mfma_i32_16x16x32_i8 v[12:15], a[150:151], a[78:79], v[12:15]// 0000000039CC: D3D7000C 1C329D96
	v_mfma_i32_16x16x32_i8 v[16:19], a[144:145], a[80:81], v[16:19]// 0000000039D4: D3D70010 1C42A190
	v_mfma_i32_16x16x32_i8 v[16:19], a[146:147], a[82:83], v[16:19]// 0000000039DC: D3D70010 1C42A592
	v_mfma_i32_16x16x32_i8 v[16:19], a[148:149], a[84:85], v[16:19]// 0000000039E4: D3D70010 1C42A994
	buffer_load_dwordx4 a[124:127], v201, s[12:15], 0 offen offset:1024// 0000000039EC: E05C1400 80837CC9
	v_mfma_i32_16x16x32_i8 v[16:19], a[150:151], a[86:87], v[16:19]// 0000000039F4: D3D70010 1C42AD96
	v_mfma_i32_16x16x32_i8 v[20:23], a[144:145], a[88:89], v[20:23]// 0000000039FC: D3D70014 1C52B190
	v_mfma_i32_16x16x32_i8 v[20:23], a[146:147], a[90:91], v[20:23]// 000000003A04: D3D70014 1C52B592
	s_waitcnt vmcnt(14)                                        // 000000003A0C: BF8C0F7E
	v_mfma_i32_16x16x32_i8 v[20:23], a[148:149], a[92:93], v[20:23]// 000000003A10: D3D70014 1C52B994
	buffer_load_dwordx4 a[128:131], v202, s[12:15], 0 offen    // 000000003A18: E05C1000 808380CA
	v_mfma_i32_16x16x32_i8 v[20:23], a[150:151], a[94:95], v[20:23]// 000000003A20: D3D70014 1C52BD96
	v_mfma_i32_16x16x32_i8 v[24:27], a[144:145], a[96:97], v[24:27]// 000000003A28: D3D70018 1C62C190
	v_mfma_i32_16x16x32_i8 v[24:27], a[146:147], a[98:99], v[24:27]// 000000003A30: D3D70018 1C62C592
	v_mfma_i32_16x16x32_i8 v[24:27], a[148:149], a[100:101], v[24:27]// 000000003A38: D3D70018 1C62C994
	buffer_load_dwordx4 a[132:135], v202, s[12:15], 0 offen offset:1024// 000000003A40: E05C1400 808384CA
	v_mfma_i32_16x16x32_i8 v[24:27], a[150:151], a[102:103], v[24:27]// 000000003A48: D3D70018 1C62CD96
	v_mfma_i32_16x16x32_i8 v[28:31], a[144:145], a[104:105], v[28:31]// 000000003A50: D3D7001C 1C72D190
	v_mfma_i32_16x16x32_i8 v[28:31], a[146:147], a[106:107], v[28:31]// 000000003A58: D3D7001C 1C72D592
	v_mfma_i32_16x16x32_i8 v[28:31], a[148:149], a[108:109], v[28:31]// 000000003A60: D3D7001C 1C72D994
	buffer_load_dwordx4 a[136:139], v203, s[12:15], 0 offen    // 000000003A68: E05C1000 808388CB
	v_mfma_i32_16x16x32_i8 v[28:31], a[150:151], a[110:111], v[28:31]// 000000003A70: D3D7001C 1C72DD96
	v_mfma_i32_16x16x32_i8 v[32:35], a[152:153], a[56:57], v[32:35]// 000000003A78: D3D70020 1C827198
	v_mfma_i32_16x16x32_i8 v[32:35], a[154:155], a[58:59], v[32:35]// 000000003A80: D3D70020 1C82759A
	v_mfma_i32_16x16x32_i8 v[32:35], a[156:157], a[60:61], v[32:35]// 000000003A88: D3D70020 1C82799C
	buffer_load_dwordx4 a[140:143], v203, s[12:15], 0 offen offset:1024// 000000003A90: E05C1400 80838CCB
	v_mfma_i32_16x16x32_i8 v[32:35], a[158:159], a[62:63], v[32:35]// 000000003A98: D3D70020 1C827D9E
	v_mfma_i32_16x16x32_i8 v[36:39], a[152:153], a[64:65], v[36:39]// 000000003AA0: D3D70024 1C928198
	v_mfma_i32_16x16x32_i8 v[36:39], a[154:155], a[66:67], v[36:39]// 000000003AA8: D3D70024 1C92859A
	v_mfma_i32_16x16x32_i8 v[36:39], a[156:157], a[68:69], v[36:39]// 000000003AB0: D3D70024 1C92899C
	v_mfma_i32_16x16x32_i8 v[36:39], a[158:159], a[70:71], v[36:39]// 000000003AB8: D3D70024 1C928D9E
	s_waitcnt vmcnt(8)                                         // 000000003AC0: BF8C0F78
	v_mfma_i32_16x16x32_i8 v[40:43], a[152:153], a[72:73], v[40:43]// 000000003AC4: D3D70028 1CA29198
	s_barrier                                                  // 000000003ACC: BF8A0000
	v_mfma_i32_16x16x32_i8 v[40:43], a[154:155], a[74:75], v[40:43]// 000000003AD0: D3D70028 1CA2959A
	ds_read_b128 a[0:3], v198                                  // 000000003AD8: DBFE0000 000000C6
	v_mfma_i32_16x16x32_i8 v[40:43], a[156:157], a[76:77], v[40:43]// 000000003AE0: D3D70028 1CA2999C
	v_mfma_i32_16x16x32_i8 v[40:43], a[158:159], a[78:79], v[40:43]// 000000003AE8: D3D70028 1CA29D9E
	ds_read_b128 a[4:7], v198 offset:64                        // 000000003AF0: DBFE0040 040000C6
	v_mfma_i32_16x16x32_i8 v[44:47], a[152:153], a[80:81], v[44:47]// 000000003AF8: D3D7002C 1CB2A198
	v_mfma_i32_16x16x32_i8 v[44:47], a[154:155], a[82:83], v[44:47]// 000000003B00: D3D7002C 1CB2A59A
	ds_read_b128 a[8:11], v198 offset:512                      // 000000003B08: DBFE0200 080000C6
	v_mfma_i32_16x16x32_i8 v[44:47], a[156:157], a[84:85], v[44:47]// 000000003B10: D3D7002C 1CB2A99C
	v_mfma_i32_16x16x32_i8 v[44:47], a[158:159], a[86:87], v[44:47]// 000000003B18: D3D7002C 1CB2AD9E
	ds_read_b128 a[12:15], v198 offset:576                     // 000000003B20: DBFE0240 0C0000C6
	v_mfma_i32_16x16x32_i8 v[48:51], a[152:153], a[88:89], v[48:51]// 000000003B28: D3D70030 1CC2B198
	v_mfma_i32_16x16x32_i8 v[48:51], a[154:155], a[90:91], v[48:51]// 000000003B30: D3D70030 1CC2B59A
	ds_read_b128 a[16:19], v198 offset:1024                    // 000000003B38: DBFE0400 100000C6
	v_mfma_i32_16x16x32_i8 v[48:51], a[156:157], a[92:93], v[48:51]// 000000003B40: D3D70030 1CC2B99C
	v_mfma_i32_16x16x32_i8 v[48:51], a[158:159], a[94:95], v[48:51]// 000000003B48: D3D70030 1CC2BD9E
	ds_read_b128 a[20:23], v198 offset:1088                    // 000000003B50: DBFE0440 140000C6
	v_mfma_i32_16x16x32_i8 v[52:55], a[152:153], a[96:97], v[52:55]// 000000003B58: D3D70034 1CD2C198
	v_mfma_i32_16x16x32_i8 v[52:55], a[154:155], a[98:99], v[52:55]// 000000003B60: D3D70034 1CD2C59A
	ds_read_b128 a[24:27], v198 offset:1536                    // 000000003B68: DBFE0600 180000C6
	v_mfma_i32_16x16x32_i8 v[52:55], a[156:157], a[100:101], v[52:55]// 000000003B70: D3D70034 1CD2C99C
	v_mfma_i32_16x16x32_i8 v[52:55], a[158:159], a[102:103], v[52:55]// 000000003B78: D3D70034 1CD2CD9E
	ds_read_b128 a[28:31], v198 offset:1600                    // 000000003B80: DBFE0640 1C0000C6
	v_mfma_i32_16x16x32_i8 v[56:59], a[152:153], a[104:105], v[56:59]// 000000003B88: D3D70038 1CE2D198
	v_mfma_i32_16x16x32_i8 v[56:59], a[154:155], a[106:107], v[56:59]// 000000003B90: D3D70038 1CE2D59A
	ds_read_b128 a[32:35], v198 offset:2048                    // 000000003B98: DBFE0800 200000C6
	v_mfma_i32_16x16x32_i8 v[56:59], a[156:157], a[108:109], v[56:59]// 000000003BA0: D3D70038 1CE2D99C
	v_mfma_i32_16x16x32_i8 v[56:59], a[158:159], a[110:111], v[56:59]// 000000003BA8: D3D70038 1CE2DD9E
	ds_read_b128 a[36:39], v198 offset:2112                    // 000000003BB0: DBFE0840 240000C6
	v_mfma_i32_16x16x32_i8 v[60:63], a[160:161], a[56:57], v[60:63]// 000000003BB8: D3D7003C 1CF271A0
	v_mfma_i32_16x16x32_i8 v[60:63], a[162:163], a[58:59], v[60:63]// 000000003BC0: D3D7003C 1CF275A2
	ds_read_b128 a[40:43], v198 offset:2560                    // 000000003BC8: DBFE0A00 280000C6
	v_mfma_i32_16x16x32_i8 v[60:63], a[164:165], a[60:61], v[60:63]// 000000003BD0: D3D7003C 1CF279A4
	v_mfma_i32_16x16x32_i8 v[60:63], a[166:167], a[62:63], v[60:63]// 000000003BD8: D3D7003C 1CF27DA6
	ds_read_b128 a[44:47], v198 offset:2624                    // 000000003BE0: DBFE0A40 2C0000C6
	v_mfma_i32_16x16x32_i8 v[64:67], a[160:161], a[64:65], v[64:67]// 000000003BE8: D3D70040 1D0281A0
	v_mfma_i32_16x16x32_i8 v[64:67], a[162:163], a[66:67], v[64:67]// 000000003BF0: D3D70040 1D0285A2
	ds_read_b128 a[48:51], v198 offset:3072                    // 000000003BF8: DBFE0C00 300000C6
	v_mfma_i32_16x16x32_i8 v[64:67], a[164:165], a[68:69], v[64:67]// 000000003C00: D3D70040 1D0289A4
	v_mfma_i32_16x16x32_i8 v[64:67], a[166:167], a[70:71], v[64:67]// 000000003C08: D3D70040 1D028DA6
	ds_read_b128 a[52:55], v198 offset:3136                    // 000000003C10: DBFE0C40 340000C6
	v_mfma_i32_16x16x32_i8 v[68:71], a[160:161], a[72:73], v[68:71]// 000000003C18: D3D70044 1D1291A0
	v_mfma_i32_16x16x32_i8 v[68:71], a[162:163], a[74:75], v[68:71]// 000000003C20: D3D70044 1D1295A2
	s_mov_b32 m0, s45                                          // 000000003C28: BEFC002D
	buffer_load_dword v184, s[8:11], 0 offen lds               // 000000003C2C: E0511000 800200B8
	v_mfma_i32_16x16x32_i8 v[68:71], a[164:165], a[76:77], v[68:71]// 000000003C34: D3D70044 1D1299A4
	v_mfma_i32_16x16x32_i8 v[68:71], a[166:167], a[78:79], v[68:71]// 000000003C3C: D3D70044 1D129DA6
	buffer_load_dword v185, s[8:11], 0 offen offset:256 lds    // 000000003C44: E0511100 800200B9
	v_mfma_i32_16x16x32_i8 v[72:75], a[160:161], a[80:81], v[72:75]// 000000003C4C: D3D70048 1D22A1A0
	v_mfma_i32_16x16x32_i8 v[72:75], a[162:163], a[82:83], v[72:75]// 000000003C54: D3D70048 1D22A5A2
	buffer_load_dword v186, s[8:11], 0 offen offset:512 lds    // 000000003C5C: E0511200 800200BA
	v_mfma_i32_16x16x32_i8 v[72:75], a[164:165], a[84:85], v[72:75]// 000000003C64: D3D70048 1D22A9A4
	v_mfma_i32_16x16x32_i8 v[72:75], a[166:167], a[86:87], v[72:75]// 000000003C6C: D3D70048 1D22ADA6
	buffer_load_dword v187, s[8:11], 0 offen offset:768 lds    // 000000003C74: E0511300 800200BB
	v_mfma_i32_16x16x32_i8 v[76:79], a[160:161], a[88:89], v[76:79]// 000000003C7C: D3D7004C 1D32B1A0
	v_mfma_i32_16x16x32_i8 v[76:79], a[162:163], a[90:91], v[76:79]// 000000003C84: D3D7004C 1D32B5A2
	s_add_i32 m0, m0, 0x400                                    // 000000003C8C: 817CFF7C 00000400
	buffer_load_dword v188, s[8:11], 0 offen lds               // 000000003C94: E0511000 800200BC
	v_mfma_i32_16x16x32_i8 v[76:79], a[164:165], a[92:93], v[76:79]// 000000003C9C: D3D7004C 1D32B9A4
	v_mfma_i32_16x16x32_i8 v[76:79], a[166:167], a[94:95], v[76:79]// 000000003CA4: D3D7004C 1D32BDA6
	buffer_load_dword v189, s[8:11], 0 offen offset:256 lds    // 000000003CAC: E0511100 800200BD
	v_mfma_i32_16x16x32_i8 v[80:83], a[160:161], a[96:97], v[80:83]// 000000003CB4: D3D70050 1D42C1A0
	v_mfma_i32_16x16x32_i8 v[80:83], a[162:163], a[98:99], v[80:83]// 000000003CBC: D3D70050 1D42C5A2
	buffer_load_dword v190, s[8:11], 0 offen offset:512 lds    // 000000003CC4: E0511200 800200BE
	v_mfma_i32_16x16x32_i8 v[80:83], a[164:165], a[100:101], v[80:83]// 000000003CCC: D3D70050 1D42C9A4
	v_mfma_i32_16x16x32_i8 v[80:83], a[166:167], a[102:103], v[80:83]// 000000003CD4: D3D70050 1D42CDA6
	buffer_load_dword v191, s[8:11], 0 offen offset:768 lds    // 000000003CDC: E0511300 800200BF
	v_mfma_i32_16x16x32_i8 v[84:87], a[160:161], a[104:105], v[84:87]// 000000003CE4: D3D70054 1D52D1A0
	v_mfma_i32_16x16x32_i8 v[84:87], a[162:163], a[106:107], v[84:87]// 000000003CEC: D3D70054 1D52D5A2
	s_add_i32 m0, m0, 0x400                                    // 000000003CF4: 817CFF7C 00000400
	buffer_load_dword v192, s[8:11], 0 offen lds               // 000000003CFC: E0511000 800200C0
	v_mfma_i32_16x16x32_i8 v[84:87], a[164:165], a[108:109], v[84:87]// 000000003D04: D3D70054 1D52D9A4
	v_mfma_i32_16x16x32_i8 v[84:87], a[166:167], a[110:111], v[84:87]// 000000003D0C: D3D70054 1D52DDA6
	buffer_load_dword v193, s[8:11], 0 offen offset:256 lds    // 000000003D14: E0511100 800200C1
	v_mfma_i32_16x16x32_i8 v[88:91], a[168:169], a[56:57], v[88:91]// 000000003D1C: D3D70058 1D6271A8
	v_mfma_i32_16x16x32_i8 v[88:91], a[170:171], a[58:59], v[88:91]// 000000003D24: D3D70058 1D6275AA
	buffer_load_dword v194, s[8:11], 0 offen offset:512 lds    // 000000003D2C: E0511200 800200C2
	v_mfma_i32_16x16x32_i8 v[88:91], a[172:173], a[60:61], v[88:91]// 000000003D34: D3D70058 1D6279AC
	v_mfma_i32_16x16x32_i8 v[88:91], a[174:175], a[62:63], v[88:91]// 000000003D3C: D3D70058 1D627DAE
	buffer_load_dword v195, s[8:11], 0 offen offset:768 lds    // 000000003D44: E0511300 800200C3
	v_mfma_i32_16x16x32_i8 v[92:95], a[168:169], a[64:65], v[92:95]// 000000003D4C: D3D7005C 1D7281A8
	v_mfma_i32_16x16x32_i8 v[92:95], a[170:171], a[66:67], v[92:95]// 000000003D54: D3D7005C 1D7285AA
	s_add_i32 m0, m0, 0x400                                    // 000000003D5C: 817CFF7C 00000400
	buffer_load_dword v196, s[8:11], 0 offen lds               // 000000003D64: E0511000 800200C4
	v_mfma_i32_16x16x32_i8 v[92:95], a[172:173], a[68:69], v[92:95]// 000000003D6C: D3D7005C 1D7289AC
	v_mfma_i32_16x16x32_i8 v[92:95], a[174:175], a[70:71], v[92:95]// 000000003D74: D3D7005C 1D728DAE
	buffer_load_dword v197, s[8:11], 0 offen offset:256 lds    // 000000003D7C: E0511100 800200C5
	v_mfma_i32_16x16x32_i8 v[96:99], a[168:169], a[72:73], v[96:99]// 000000003D84: D3D70060 1D8291A8
	v_mfma_i32_16x16x32_i8 v[96:99], a[170:171], a[74:75], v[96:99]// 000000003D8C: D3D70060 1D8295AA
	s_cmp_ge_i32 s38, s40                                      // 000000003D94: BF032826
	s_cselect_b32 s46, 0, s46                                  // 000000003D98: 852E2E80
	v_mfma_i32_16x16x32_i8 v[96:99], a[172:173], a[76:77], v[96:99]// 000000003D9C: D3D70060 1D8299AC
	s_cmp_ge_i32 s38, s41                                      // 000000003DA4: BF032926
	s_cselect_b32 s47, 0, s47                                  // 000000003DA8: 852F2F80
	v_mfma_i32_16x16x32_i8 v[96:99], a[174:175], a[78:79], v[96:99]// 000000003DAC: D3D70060 1D829DAE
	s_add_u32 s8, s46, s8                                      // 000000003DB4: 8008082E
	s_addc_u32 s9, 0, s9                                       // 000000003DB8: 82090980
	s_sub_u32 s10, s10, s46                                    // 000000003DBC: 808A2E0A
	v_mfma_i32_16x16x32_i8 v[100:103], a[168:169], a[80:81], v[100:103]// 000000003DC0: D3D70064 1D92A1A8
	s_add_u32 s12, s47, s12                                    // 000000003DC8: 800C0C2F
	s_addc_u32 s13, 0, s13                                     // 000000003DCC: 820D0D80
	v_mfma_i32_16x16x32_i8 v[100:103], a[170:171], a[82:83], v[100:103]// 000000003DD0: D3D70064 1D92A5AA
	s_addk_i32 s38, 0x1                                        // 000000003DD8: B7260001
	v_mfma_i32_16x16x32_i8 v[100:103], a[172:173], a[84:85], v[100:103]// 000000003DDC: D3D70064 1D92A9AC
	v_mfma_i32_16x16x32_i8 v[100:103], a[174:175], a[86:87], v[100:103]// 000000003DE4: D3D70064 1D92ADAE
	v_mfma_i32_16x16x32_i8 v[104:107], a[168:169], a[88:89], v[104:107]// 000000003DEC: D3D70068 1DA2B1A8
	v_mfma_i32_16x16x32_i8 v[104:107], a[170:171], a[90:91], v[104:107]// 000000003DF4: D3D70068 1DA2B5AA
	v_mfma_i32_16x16x32_i8 v[104:107], a[172:173], a[92:93], v[104:107]// 000000003DFC: D3D70068 1DA2B9AC
	v_mfma_i32_16x16x32_i8 v[104:107], a[174:175], a[94:95], v[104:107]// 000000003E04: D3D70068 1DA2BDAE
	v_mfma_i32_16x16x32_i8 v[108:111], a[168:169], a[96:97], v[108:111]// 000000003E0C: D3D7006C 1DB2C1A8
	v_mfma_i32_16x16x32_i8 v[108:111], a[170:171], a[98:99], v[108:111]// 000000003E14: D3D7006C 1DB2C5AA
	v_mfma_i32_16x16x32_i8 v[108:111], a[172:173], a[100:101], v[108:111]// 000000003E1C: D3D7006C 1DB2C9AC
	v_mfma_i32_16x16x32_i8 v[108:111], a[174:175], a[102:103], v[108:111]// 000000003E24: D3D7006C 1DB2CDAE
	v_mfma_i32_16x16x32_i8 v[112:115], a[168:169], a[104:105], v[112:115]// 000000003E2C: D3D70070 1DC2D1A8
	v_mfma_i32_16x16x32_i8 v[112:115], a[170:171], a[106:107], v[112:115]// 000000003E34: D3D70070 1DC2D5AA
	s_waitcnt vmcnt(18) lgkmcnt(0)                             // 000000003E3C: BF8C4072
	v_mfma_i32_16x16x32_i8 v[112:115], a[172:173], a[108:109], v[112:115]// 000000003E40: D3D70070 1DC2D9AC
	v_mfma_i32_16x16x32_i8 v[112:115], a[174:175], a[110:111], v[112:115]// 000000003E48: D3D70070 1DC2DDAE
	s_cmp_lt_i32 s38, s39                                      // 000000003E50: BF042726
	s_cbranch_scc0 64120                                       // 000000003E54: BF84FA78 <_ZN5aiter42I8gemm_bf16_perTokenI8_BpreShuffle_112x256E+0x838>
	s_branch 64897                                             // 000000003E58: BF82FD81 <_ZN5aiter42I8gemm_bf16_perTokenI8_BpreShuffle_112x256E+0x1460>
	s_mov_b64 s[0:1], src_shared_base                          // 000000003E5C: BE8001EB
	v_mov_b32_e32 v0, 0xffff                                   // 000000003E60: 7E0002FF 0000FFFF
	v_mov_b32_e32 v1, s1                                       // 000000003E68: 7E020201
	v_mov_b32_e32 v2, 0xff                                     // 000000003E6C: 7E0402FF 000000FF
	flat_store_byte v[0:1], v2 sc0 sc1                         // 000000003E74: DE610000 00000200
	s_waitcnt vmcnt(0)                                         // 000000003E7C: BF8C0F70
	s_endpgm                                                   // 000000003E80: BF810000
	s_nop 0                                                    // 000000003E84: BF800000
	s_nop 0                                                    // 000000003E88: BF800000
	s_nop 0                                                    // 000000003E8C: BF800000
	s_nop 0                                                    // 000000003E90: BF800000
	s_nop 0                                                    // 000000003E94: BF800000
	s_nop 0                                                    // 000000003E98: BF800000
	s_nop 0                                                    // 000000003E9C: BF800000
	s_nop 0                                                    // 000000003EA0: BF800000
	s_nop 0                                                    // 000000003EA4: BF800000
	s_nop 0                                                    // 000000003EA8: BF800000
	s_nop 0                                                    // 000000003EAC: BF800000
	s_nop 0                                                    // 000000003EB0: BF800000
	s_nop 0                                                    // 000000003EB4: BF800000
	s_nop 0                                                    // 000000003EB8: BF800000
	s_nop 0                                                    // 000000003EBC: BF800000
	s_nop 0                                                    // 000000003EC0: BF800000
	s_nop 0                                                    // 000000003EC4: BF800000
	s_nop 0                                                    // 000000003EC8: BF800000
	s_nop 0                                                    // 000000003ECC: BF800000
	s_nop 0                                                    // 000000003ED0: BF800000
	s_nop 0                                                    // 000000003ED4: BF800000
	s_nop 0                                                    // 000000003ED8: BF800000
	s_nop 0                                                    // 000000003EDC: BF800000
	s_nop 0                                                    // 000000003EE0: BF800000
	s_nop 0                                                    // 000000003EE4: BF800000
	s_nop 0                                                    // 000000003EE8: BF800000
	s_nop 0                                                    // 000000003EEC: BF800000
	s_nop 0                                                    // 000000003EF0: BF800000
	s_nop 0                                                    // 000000003EF4: BF800000
	s_nop 0                                                    // 000000003EF8: BF800000
	s_nop 0                                                    // 000000003EFC: BF800000
	s_nop 0                                                    // 000000003F00: BF800000
	s_nop 0                                                    // 000000003F04: BF800000
	s_nop 0                                                    // 000000003F08: BF800000
	s_nop 0                                                    // 000000003F0C: BF800000
	s_nop 0                                                    // 000000003F10: BF800000
	s_nop 0                                                    // 000000003F14: BF800000
	s_nop 0                                                    // 000000003F18: BF800000
	s_nop 0                                                    // 000000003F1C: BF800000
	s_nop 0                                                    // 000000003F20: BF800000
	s_nop 0                                                    // 000000003F24: BF800000
	s_nop 0                                                    // 000000003F28: BF800000
	s_nop 0                                                    // 000000003F2C: BF800000
	s_nop 0                                                    // 000000003F30: BF800000
	s_nop 0                                                    // 000000003F34: BF800000
	s_nop 0                                                    // 000000003F38: BF800000
	s_nop 0                                                    // 000000003F3C: BF800000
	s_nop 0                                                    // 000000003F40: BF800000
	s_nop 0                                                    // 000000003F44: BF800000
	s_nop 0                                                    // 000000003F48: BF800000
	s_nop 0                                                    // 000000003F4C: BF800000
	s_nop 0                                                    // 000000003F50: BF800000
	s_nop 0                                                    // 000000003F54: BF800000
	s_nop 0                                                    // 000000003F58: BF800000
	s_nop 0                                                    // 000000003F5C: BF800000
	s_nop 0                                                    // 000000003F60: BF800000
	s_nop 0                                                    // 000000003F64: BF800000
	s_nop 0                                                    // 000000003F68: BF800000
	s_nop 0                                                    // 000000003F6C: BF800000
	s_nop 0                                                    // 000000003F70: BF800000
	s_nop 0                                                    // 000000003F74: BF800000
	s_nop 0                                                    // 000000003F78: BF800000
	s_nop 0                                                    // 000000003F7C: BF800000
	s_nop 0                                                    // 000000003F80: BF800000
	s_nop 0                                                    // 000000003F84: BF800000
	s_nop 0                                                    // 000000003F88: BF800000
	s_nop 0                                                    // 000000003F8C: BF800000
	s_nop 0                                                    // 000000003F90: BF800000
	s_nop 0                                                    // 000000003F94: BF800000
	s_nop 0                                                    // 000000003F98: BF800000
	s_nop 0                                                    // 000000003F9C: BF800000
	s_nop 0                                                    // 000000003FA0: BF800000
	s_nop 0                                                    // 000000003FA4: BF800000
	s_nop 0                                                    // 000000003FA8: BF800000
	s_nop 0                                                    // 000000003FAC: BF800000
	s_nop 0                                                    // 000000003FB0: BF800000
	s_nop 0                                                    // 000000003FB4: BF800000
	s_nop 0                                                    // 000000003FB8: BF800000
	s_nop 0                                                    // 000000003FBC: BF800000
	s_nop 0                                                    // 000000003FC0: BF800000
	s_nop 0                                                    // 000000003FC4: BF800000
	s_nop 0                                                    // 000000003FC8: BF800000
	s_nop 0                                                    // 000000003FCC: BF800000
	s_nop 0                                                    // 000000003FD0: BF800000
	s_nop 0                                                    // 000000003FD4: BF800000
	s_nop 0                                                    // 000000003FD8: BF800000
	s_nop 0                                                    // 000000003FDC: BF800000
	s_nop 0                                                    // 000000003FE0: BF800000
	s_nop 0                                                    // 000000003FE4: BF800000
	s_nop 0                                                    // 000000003FE8: BF800000
	s_nop 0                                                    // 000000003FEC: BF800000
	s_nop 0                                                    // 000000003FF0: BF800000
	s_nop 0                                                    // 000000003FF4: BF800000
	s_nop 0                                                    // 000000003FF8: BF800000
	s_nop 0                                                    // 000000003FFC: BF800000
	s_nop 0                                                    // 000000004000: BF800000
	s_nop 0                                                    // 000000004004: BF800000
	;; [unrolled: 1-line block ×3, first 2 shown]
	s_nop 0                                                    // 00000000400C: BF800000
	s_nop 0                                                    // 000000004010: BF800000
	s_nop 0                                                    // 000000004014: BF800000
	;; [unrolled: 1-line block ×3, first 2 shown]
	s_nop 0                                                    // 00000000401C: BF800000
	s_nop 0                                                    // 000000004020: BF800000
	s_nop 0                                                    // 000000004024: BF800000
	;; [unrolled: 1-line block ×3, first 2 shown]
	s_nop 0                                                    // 00000000402C: BF800000
	s_nop 0                                                    // 000000004030: BF800000
	s_nop 0                                                    // 000000004034: BF800000
	;; [unrolled: 1-line block ×3, first 2 shown]
	s_nop 0                                                    // 00000000403C: BF800000
	s_nop 0                                                    // 000000004040: BF800000
	s_nop 0                                                    // 000000004044: BF800000
	;; [unrolled: 1-line block ×3, first 2 shown]
	s_nop 0                                                    // 00000000404C: BF800000
	s_nop 0                                                    // 000000004050: BF800000
	s_nop 0                                                    // 000000004054: BF800000
	s_nop 0                                                    // 000000004058: BF800000
	s_nop 0                                                    // 00000000405C: BF800000
	s_nop 0                                                    // 000000004060: BF800000
	s_nop 0                                                    // 000000004064: BF800000
	;; [unrolled: 1-line block ×3, first 2 shown]
	s_nop 0                                                    // 00000000406C: BF800000
	s_nop 0                                                    // 000000004070: BF800000
	s_nop 0                                                    // 000000004074: BF800000
	;; [unrolled: 1-line block ×3, first 2 shown]
	s_nop 0                                                    // 00000000407C: BF800000
	s_nop 0                                                    // 000000004080: BF800000
	s_nop 0                                                    // 000000004084: BF800000
	s_nop 0                                                    // 000000004088: BF800000
	s_nop 0                                                    // 00000000408C: BF800000
	s_nop 0                                                    // 000000004090: BF800000
	s_nop 0                                                    // 000000004094: BF800000
	;; [unrolled: 1-line block ×3, first 2 shown]
	s_nop 0                                                    // 00000000409C: BF800000
	s_nop 0                                                    // 0000000040A0: BF800000
	s_nop 0                                                    // 0000000040A4: BF800000
	s_nop 0                                                    // 0000000040A8: BF800000
	s_nop 0                                                    // 0000000040AC: BF800000
	s_nop 0                                                    // 0000000040B0: BF800000
	s_nop 0                                                    // 0000000040B4: BF800000
	s_nop 0                                                    // 0000000040B8: BF800000
	s_nop 0                                                    // 0000000040BC: BF800000
	s_nop 0                                                    // 0000000040C0: BF800000
	s_nop 0                                                    // 0000000040C4: BF800000
	s_nop 0                                                    // 0000000040C8: BF800000
	s_nop 0                                                    // 0000000040CC: BF800000
	s_nop 0                                                    // 0000000040D0: BF800000
	s_nop 0                                                    // 0000000040D4: BF800000
	s_nop 0                                                    // 0000000040D8: BF800000
	s_nop 0                                                    // 0000000040DC: BF800000
	s_nop 0                                                    // 0000000040E0: BF800000
	s_nop 0                                                    // 0000000040E4: BF800000
	s_nop 0                                                    // 0000000040E8: BF800000
	s_nop 0                                                    // 0000000040EC: BF800000
	s_nop 0                                                    // 0000000040F0: BF800000
	s_nop 0                                                    // 0000000040F4: BF800000
	s_nop 0                                                    // 0000000040F8: BF800000
	s_nop 0                                                    // 0000000040FC: BF800000
	s_nop 0                                                    // 000000004100: BF800000
	s_nop 0                                                    // 000000004104: BF800000
	;; [unrolled: 1-line block ×3, first 2 shown]
	s_nop 0                                                    // 00000000410C: BF800000
	s_nop 0                                                    // 000000004110: BF800000
	s_nop 0                                                    // 000000004114: BF800000
	;; [unrolled: 1-line block ×3, first 2 shown]
	s_nop 0                                                    // 00000000411C: BF800000
	s_nop 0                                                    // 000000004120: BF800000
	s_nop 0                                                    // 000000004124: BF800000
	s_nop 0                                                    // 000000004128: BF800000
	s_nop 0                                                    // 00000000412C: BF800000
	s_nop 0                                                    // 000000004130: BF800000
	s_nop 0                                                    // 000000004134: BF800000
	;; [unrolled: 1-line block ×3, first 2 shown]
	s_nop 0                                                    // 00000000413C: BF800000
	s_nop 0                                                    // 000000004140: BF800000
	s_nop 0                                                    // 000000004144: BF800000
	;; [unrolled: 1-line block ×3, first 2 shown]
	s_nop 0                                                    // 00000000414C: BF800000
	s_nop 0                                                    // 000000004150: BF800000
	s_nop 0                                                    // 000000004154: BF800000
	;; [unrolled: 1-line block ×3, first 2 shown]
	s_nop 0                                                    // 00000000415C: BF800000
	s_nop 0                                                    // 000000004160: BF800000
	s_nop 0                                                    // 000000004164: BF800000
	;; [unrolled: 1-line block ×3, first 2 shown]
	s_nop 0                                                    // 00000000416C: BF800000
	s_nop 0                                                    // 000000004170: BF800000
	s_nop 0                                                    // 000000004174: BF800000
	;; [unrolled: 1-line block ×3, first 2 shown]
	s_nop 0                                                    // 00000000417C: BF800000
	s_nop 0                                                    // 000000004180: BF800000
	s_nop 0                                                    // 000000004184: BF800000
	;; [unrolled: 1-line block ×3, first 2 shown]
	s_nop 0                                                    // 00000000418C: BF800000
	s_nop 0                                                    // 000000004190: BF800000
	s_nop 0                                                    // 000000004194: BF800000
	;; [unrolled: 1-line block ×3, first 2 shown]
	s_nop 0                                                    // 00000000419C: BF800000
	s_nop 0                                                    // 0000000041A0: BF800000
	s_nop 0                                                    // 0000000041A4: BF800000
	s_nop 0                                                    // 0000000041A8: BF800000
	s_nop 0                                                    // 0000000041AC: BF800000
	s_nop 0                                                    // 0000000041B0: BF800000
	s_nop 0                                                    // 0000000041B4: BF800000
	s_nop 0                                                    // 0000000041B8: BF800000
	s_nop 0                                                    // 0000000041BC: BF800000
	s_nop 0                                                    // 0000000041C0: BF800000
	s_nop 0                                                    // 0000000041C4: BF800000
	s_nop 0                                                    // 0000000041C8: BF800000
	s_nop 0                                                    // 0000000041CC: BF800000
	s_nop 0                                                    // 0000000041D0: BF800000
	s_nop 0                                                    // 0000000041D4: BF800000
	s_nop 0                                                    // 0000000041D8: BF800000
	s_nop 0                                                    // 0000000041DC: BF800000
	s_nop 0                                                    // 0000000041E0: BF800000
	s_nop 0                                                    // 0000000041E4: BF800000
	s_nop 0                                                    // 0000000041E8: BF800000
	s_nop 0                                                    // 0000000041EC: BF800000
	s_nop 0                                                    // 0000000041F0: BF800000
	s_nop 0                                                    // 0000000041F4: BF800000
	s_nop 0                                                    // 0000000041F8: BF800000
	s_nop 0                                                    // 0000000041FC: BF800000
	s_nop 0                                                    // 000000004200: BF800000
	s_nop 0                                                    // 000000004204: BF800000
	;; [unrolled: 1-line block ×3, first 2 shown]
	s_nop 0                                                    // 00000000420C: BF800000
	s_nop 0                                                    // 000000004210: BF800000
	s_nop 0                                                    // 000000004214: BF800000
	;; [unrolled: 1-line block ×3, first 2 shown]
	s_nop 0                                                    // 00000000421C: BF800000
	s_nop 0                                                    // 000000004220: BF800000
	s_nop 0                                                    // 000000004224: BF800000
	;; [unrolled: 1-line block ×3, first 2 shown]
	s_nop 0                                                    // 00000000422C: BF800000
	s_nop 0                                                    // 000000004230: BF800000
	s_nop 0                                                    // 000000004234: BF800000
	;; [unrolled: 1-line block ×3, first 2 shown]
	s_nop 0                                                    // 00000000423C: BF800000
	s_nop 0                                                    // 000000004240: BF800000
	s_nop 0                                                    // 000000004244: BF800000
	;; [unrolled: 1-line block ×3, first 2 shown]
	s_nop 0                                                    // 00000000424C: BF800000
	s_nop 0                                                    // 000000004250: BF800000
	s_nop 0                                                    // 000000004254: BF800000
	;; [unrolled: 1-line block ×3, first 2 shown]
	s_nop 0                                                    // 00000000425C: BF800000
	s_nop 0                                                    // 000000004260: BF800000
	s_nop 0                                                    // 000000004264: BF800000
	s_nop 0                                                    // 000000004268: BF800000
	s_nop 0                                                    // 00000000426C: BF800000
	s_nop 0                                                    // 000000004270: BF800000
	s_nop 0                                                    // 000000004274: BF800000
	;; [unrolled: 1-line block ×3, first 2 shown]
	s_nop 0                                                    // 00000000427C: BF800000
	s_nop 0                                                    // 000000004280: BF800000
	s_nop 0                                                    // 000000004284: BF800000
	;; [unrolled: 1-line block ×3, first 2 shown]
	s_nop 0                                                    // 00000000428C: BF800000
	s_nop 0                                                    // 000000004290: BF800000
	s_nop 0                                                    // 000000004294: BF800000
	;; [unrolled: 1-line block ×3, first 2 shown]
	s_nop 0                                                    // 00000000429C: BF800000
	s_nop 0                                                    // 0000000042A0: BF800000
	s_nop 0                                                    // 0000000042A4: BF800000
	s_nop 0                                                    // 0000000042A8: BF800000
	s_nop 0                                                    // 0000000042AC: BF800000
	s_nop 0                                                    // 0000000042B0: BF800000
	s_nop 0                                                    // 0000000042B4: BF800000
	s_nop 0                                                    // 0000000042B8: BF800000
	s_nop 0                                                    // 0000000042BC: BF800000
